;; amdgpu-corpus repo=ROCm/rocFFT kind=compiled arch=gfx906 opt=O3
	.text
	.amdgcn_target "amdgcn-amd-amdhsa--gfx906"
	.amdhsa_code_object_version 6
	.protected	fft_rtc_back_len320_factors_10_4_4_2_wgs_64_tpt_16_halfLds_dp_op_CI_CI_unitstride_sbrr_dirReg ; -- Begin function fft_rtc_back_len320_factors_10_4_4_2_wgs_64_tpt_16_halfLds_dp_op_CI_CI_unitstride_sbrr_dirReg
	.globl	fft_rtc_back_len320_factors_10_4_4_2_wgs_64_tpt_16_halfLds_dp_op_CI_CI_unitstride_sbrr_dirReg
	.p2align	8
	.type	fft_rtc_back_len320_factors_10_4_4_2_wgs_64_tpt_16_halfLds_dp_op_CI_CI_unitstride_sbrr_dirReg,@function
fft_rtc_back_len320_factors_10_4_4_2_wgs_64_tpt_16_halfLds_dp_op_CI_CI_unitstride_sbrr_dirReg: ; @fft_rtc_back_len320_factors_10_4_4_2_wgs_64_tpt_16_halfLds_dp_op_CI_CI_unitstride_sbrr_dirReg
; %bb.0:
	s_load_dwordx4 s[8:11], s[4:5], 0x58
	s_load_dwordx4 s[12:15], s[4:5], 0x0
	;; [unrolled: 1-line block ×3, first 2 shown]
	v_lshrrev_b32_e32 v82, 4, v0
	v_mov_b32_e32 v3, 0
	v_mov_b32_e32 v1, 0
	s_waitcnt lgkmcnt(0)
	v_cmp_lt_u64_e64 s[0:1], s[14:15], 2
	v_lshl_or_b32 v5, s6, 2, v82
	v_mov_b32_e32 v6, v3
	s_and_b64 vcc, exec, s[0:1]
	v_mov_b32_e32 v2, 0
	s_cbranch_vccnz .LBB0_8
; %bb.1:
	s_load_dwordx2 s[0:1], s[4:5], 0x10
	s_add_u32 s2, s18, 8
	s_addc_u32 s3, s19, 0
	s_add_u32 s6, s16, 8
	v_mov_b32_e32 v1, 0
	s_addc_u32 s7, s17, 0
	v_mov_b32_e32 v2, 0
	s_waitcnt lgkmcnt(0)
	s_add_u32 s20, s0, 8
	v_mov_b32_e32 v84, v2
	s_addc_u32 s21, s1, 0
	s_mov_b64 s[22:23], 1
	v_mov_b32_e32 v83, v1
.LBB0_2:                                ; =>This Inner Loop Header: Depth=1
	s_load_dwordx2 s[24:25], s[20:21], 0x0
                                        ; implicit-def: $vgpr85_vgpr86
	s_waitcnt lgkmcnt(0)
	v_or_b32_e32 v4, s25, v6
	v_cmp_ne_u64_e32 vcc, 0, v[3:4]
	s_and_saveexec_b64 s[0:1], vcc
	s_xor_b64 s[26:27], exec, s[0:1]
	s_cbranch_execz .LBB0_4
; %bb.3:                                ;   in Loop: Header=BB0_2 Depth=1
	v_cvt_f32_u32_e32 v4, s24
	v_cvt_f32_u32_e32 v7, s25
	s_sub_u32 s0, 0, s24
	s_subb_u32 s1, 0, s25
	v_mac_f32_e32 v4, 0x4f800000, v7
	v_rcp_f32_e32 v4, v4
	v_mul_f32_e32 v4, 0x5f7ffffc, v4
	v_mul_f32_e32 v7, 0x2f800000, v4
	v_trunc_f32_e32 v7, v7
	v_mac_f32_e32 v4, 0xcf800000, v7
	v_cvt_u32_f32_e32 v7, v7
	v_cvt_u32_f32_e32 v4, v4
	v_mul_lo_u32 v8, s0, v7
	v_mul_hi_u32 v9, s0, v4
	v_mul_lo_u32 v11, s1, v4
	v_mul_lo_u32 v10, s0, v4
	v_add_u32_e32 v8, v9, v8
	v_add_u32_e32 v8, v8, v11
	v_mul_hi_u32 v9, v4, v10
	v_mul_lo_u32 v11, v4, v8
	v_mul_hi_u32 v13, v4, v8
	v_mul_hi_u32 v12, v7, v10
	v_mul_lo_u32 v10, v7, v10
	v_mul_hi_u32 v14, v7, v8
	v_add_co_u32_e32 v9, vcc, v9, v11
	v_addc_co_u32_e32 v11, vcc, 0, v13, vcc
	v_mul_lo_u32 v8, v7, v8
	v_add_co_u32_e32 v9, vcc, v9, v10
	v_addc_co_u32_e32 v9, vcc, v11, v12, vcc
	v_addc_co_u32_e32 v10, vcc, 0, v14, vcc
	v_add_co_u32_e32 v8, vcc, v9, v8
	v_addc_co_u32_e32 v9, vcc, 0, v10, vcc
	v_add_co_u32_e32 v4, vcc, v4, v8
	v_addc_co_u32_e32 v7, vcc, v7, v9, vcc
	v_mul_lo_u32 v8, s0, v7
	v_mul_hi_u32 v9, s0, v4
	v_mul_lo_u32 v10, s1, v4
	v_mul_lo_u32 v11, s0, v4
	v_add_u32_e32 v8, v9, v8
	v_add_u32_e32 v8, v8, v10
	v_mul_lo_u32 v12, v4, v8
	v_mul_hi_u32 v13, v4, v11
	v_mul_hi_u32 v14, v4, v8
	v_mul_hi_u32 v10, v7, v11
	v_mul_lo_u32 v11, v7, v11
	v_mul_hi_u32 v9, v7, v8
	v_add_co_u32_e32 v12, vcc, v13, v12
	v_addc_co_u32_e32 v13, vcc, 0, v14, vcc
	v_mul_lo_u32 v8, v7, v8
	v_add_co_u32_e32 v11, vcc, v12, v11
	v_addc_co_u32_e32 v10, vcc, v13, v10, vcc
	v_addc_co_u32_e32 v9, vcc, 0, v9, vcc
	v_add_co_u32_e32 v8, vcc, v10, v8
	v_addc_co_u32_e32 v9, vcc, 0, v9, vcc
	v_add_co_u32_e32 v4, vcc, v4, v8
	v_addc_co_u32_e32 v9, vcc, v7, v9, vcc
	v_mad_u64_u32 v[7:8], s[0:1], v5, v9, 0
	v_mul_hi_u32 v10, v5, v4
	v_add_co_u32_e32 v11, vcc, v10, v7
	v_addc_co_u32_e32 v12, vcc, 0, v8, vcc
	v_mad_u64_u32 v[7:8], s[0:1], v6, v4, 0
	v_mad_u64_u32 v[9:10], s[0:1], v6, v9, 0
	v_add_co_u32_e32 v4, vcc, v11, v7
	v_addc_co_u32_e32 v4, vcc, v12, v8, vcc
	v_addc_co_u32_e32 v7, vcc, 0, v10, vcc
	v_add_co_u32_e32 v4, vcc, v4, v9
	v_addc_co_u32_e32 v9, vcc, 0, v7, vcc
	v_mul_lo_u32 v10, s25, v4
	v_mul_lo_u32 v11, s24, v9
	v_mad_u64_u32 v[7:8], s[0:1], s24, v4, 0
	v_add3_u32 v8, v8, v11, v10
	v_sub_u32_e32 v10, v6, v8
	v_mov_b32_e32 v11, s25
	v_sub_co_u32_e32 v7, vcc, v5, v7
	v_subb_co_u32_e64 v10, s[0:1], v10, v11, vcc
	v_subrev_co_u32_e64 v11, s[0:1], s24, v7
	v_subbrev_co_u32_e64 v10, s[0:1], 0, v10, s[0:1]
	v_cmp_le_u32_e64 s[0:1], s25, v10
	v_cndmask_b32_e64 v12, 0, -1, s[0:1]
	v_cmp_le_u32_e64 s[0:1], s24, v11
	v_cndmask_b32_e64 v11, 0, -1, s[0:1]
	v_cmp_eq_u32_e64 s[0:1], s25, v10
	v_cndmask_b32_e64 v10, v12, v11, s[0:1]
	v_add_co_u32_e64 v11, s[0:1], 2, v4
	v_addc_co_u32_e64 v12, s[0:1], 0, v9, s[0:1]
	v_add_co_u32_e64 v13, s[0:1], 1, v4
	v_addc_co_u32_e64 v14, s[0:1], 0, v9, s[0:1]
	v_subb_co_u32_e32 v8, vcc, v6, v8, vcc
	v_cmp_ne_u32_e64 s[0:1], 0, v10
	v_cmp_le_u32_e32 vcc, s25, v8
	v_cndmask_b32_e64 v10, v14, v12, s[0:1]
	v_cndmask_b32_e64 v12, 0, -1, vcc
	v_cmp_le_u32_e32 vcc, s24, v7
	v_cndmask_b32_e64 v7, 0, -1, vcc
	v_cmp_eq_u32_e32 vcc, s25, v8
	v_cndmask_b32_e32 v7, v12, v7, vcc
	v_cmp_ne_u32_e32 vcc, 0, v7
	v_cndmask_b32_e64 v7, v13, v11, s[0:1]
	v_cndmask_b32_e32 v86, v9, v10, vcc
	v_cndmask_b32_e32 v85, v4, v7, vcc
.LBB0_4:                                ;   in Loop: Header=BB0_2 Depth=1
	s_andn2_saveexec_b64 s[0:1], s[26:27]
	s_cbranch_execz .LBB0_6
; %bb.5:                                ;   in Loop: Header=BB0_2 Depth=1
	v_cvt_f32_u32_e32 v4, s24
	s_sub_i32 s26, 0, s24
	v_mov_b32_e32 v86, v3
	v_rcp_iflag_f32_e32 v4, v4
	v_mul_f32_e32 v4, 0x4f7ffffe, v4
	v_cvt_u32_f32_e32 v4, v4
	v_mul_lo_u32 v7, s26, v4
	v_mul_hi_u32 v7, v4, v7
	v_add_u32_e32 v4, v4, v7
	v_mul_hi_u32 v4, v5, v4
	v_mul_lo_u32 v7, v4, s24
	v_add_u32_e32 v8, 1, v4
	v_sub_u32_e32 v7, v5, v7
	v_subrev_u32_e32 v9, s24, v7
	v_cmp_le_u32_e32 vcc, s24, v7
	v_cndmask_b32_e32 v7, v7, v9, vcc
	v_cndmask_b32_e32 v4, v4, v8, vcc
	v_add_u32_e32 v8, 1, v4
	v_cmp_le_u32_e32 vcc, s24, v7
	v_cndmask_b32_e32 v85, v4, v8, vcc
.LBB0_6:                                ;   in Loop: Header=BB0_2 Depth=1
	s_or_b64 exec, exec, s[0:1]
	v_mul_lo_u32 v4, v86, s24
	v_mul_lo_u32 v9, v85, s25
	v_mad_u64_u32 v[7:8], s[0:1], v85, s24, 0
	s_load_dwordx2 s[0:1], s[6:7], 0x0
	s_load_dwordx2 s[24:25], s[2:3], 0x0
	v_add3_u32 v4, v8, v9, v4
	v_sub_co_u32_e32 v5, vcc, v5, v7
	v_subb_co_u32_e32 v4, vcc, v6, v4, vcc
	s_waitcnt lgkmcnt(0)
	v_mul_lo_u32 v6, s0, v4
	v_mul_lo_u32 v7, s1, v5
	v_mad_u64_u32 v[1:2], s[0:1], s0, v5, v[1:2]
	v_mul_lo_u32 v4, s24, v4
	v_mul_lo_u32 v8, s25, v5
	v_mad_u64_u32 v[83:84], s[0:1], s24, v5, v[83:84]
	s_add_u32 s22, s22, 1
	s_addc_u32 s23, s23, 0
	s_add_u32 s2, s2, 8
	v_add3_u32 v84, v8, v84, v4
	s_addc_u32 s3, s3, 0
	v_mov_b32_e32 v4, s14
	s_add_u32 s6, s6, 8
	v_mov_b32_e32 v5, s15
	s_addc_u32 s7, s7, 0
	v_cmp_ge_u64_e32 vcc, s[22:23], v[4:5]
	s_add_u32 s20, s20, 8
	v_add3_u32 v2, v7, v2, v6
	s_addc_u32 s21, s21, 0
	s_cbranch_vccnz .LBB0_9
; %bb.7:                                ;   in Loop: Header=BB0_2 Depth=1
	v_mov_b32_e32 v5, v85
	v_mov_b32_e32 v6, v86
	s_branch .LBB0_2
.LBB0_8:
	v_mov_b32_e32 v84, v2
	v_mov_b32_e32 v86, v6
	;; [unrolled: 1-line block ×4, first 2 shown]
.LBB0_9:
	s_load_dwordx2 s[0:1], s[4:5], 0x28
	s_lshl_b64 s[6:7], s[14:15], 3
	s_add_u32 s2, s18, s6
	s_addc_u32 s3, s19, s7
	v_and_b32_e32 v81, 15, v0
	s_waitcnt lgkmcnt(0)
	v_cmp_gt_u64_e32 vcc, s[0:1], v[85:86]
	v_cmp_le_u64_e64 s[0:1], s[0:1], v[85:86]
                                        ; implicit-def: $vgpr87
                                        ; implicit-def: $vgpr93
                                        ; implicit-def: $vgpr94
                                        ; implicit-def: $vgpr89
                                        ; implicit-def: $vgpr95
                                        ; implicit-def: $vgpr91
                                        ; implicit-def: $vgpr96
                                        ; implicit-def: $vgpr92
                                        ; implicit-def: $vgpr97
	s_and_saveexec_b64 s[4:5], s[0:1]
	s_xor_b64 s[0:1], exec, s[4:5]
; %bb.10:
	v_and_b32_e32 v81, 15, v0
	v_or_b32_e32 v87, 16, v81
	v_or_b32_e32 v93, 0x50, v81
	;; [unrolled: 1-line block ×9, first 2 shown]
                                        ; implicit-def: $vgpr0
                                        ; implicit-def: $vgpr1_vgpr2
; %bb.11:
	s_or_saveexec_b64 s[4:5], s[0:1]
                                        ; implicit-def: $vgpr47_vgpr48
                                        ; implicit-def: $vgpr67_vgpr68
                                        ; implicit-def: $vgpr59_vgpr60
                                        ; implicit-def: $vgpr79_vgpr80
                                        ; implicit-def: $vgpr43_vgpr44
                                        ; implicit-def: $vgpr23_vgpr24
                                        ; implicit-def: $vgpr3_vgpr4
                                        ; implicit-def: $vgpr27_vgpr28
                                        ; implicit-def: $vgpr15_vgpr16
                                        ; implicit-def: $vgpr35_vgpr36
                                        ; implicit-def: $vgpr11_vgpr12
                                        ; implicit-def: $vgpr39_vgpr40
                                        ; implicit-def: $vgpr19_vgpr20
                                        ; implicit-def: $vgpr31_vgpr32
                                        ; implicit-def: $vgpr7_vgpr8
                                        ; implicit-def: $vgpr55_vgpr56
                                        ; implicit-def: $vgpr63_vgpr64
                                        ; implicit-def: $vgpr75_vgpr76
                                        ; implicit-def: $vgpr51_vgpr52
                                        ; implicit-def: $vgpr71_vgpr72
	s_xor_b64 exec, exec, s[4:5]
	s_cbranch_execz .LBB0_13
; %bb.12:
	s_add_u32 s0, s16, s6
	s_addc_u32 s1, s17, s7
	s_load_dwordx2 s[0:1], s[0:1], 0x0
	v_mov_b32_e32 v7, s9
	v_lshlrev_b64 v[1:2], 4, v[1:2]
	v_lshlrev_b32_e32 v15, 4, v81
	v_or_b32_e32 v94, 0x60, v81
	s_waitcnt lgkmcnt(0)
	v_mul_lo_u32 v5, s1, v85
	v_mul_lo_u32 v6, s0, v86
	v_mad_u64_u32 v[3:4], s[0:1], s0, v85, 0
	v_or_b32_e32 v96, 0x80, v81
	v_or_b32_e32 v93, 0x50, v81
	v_add3_u32 v4, v4, v6, v5
	v_lshlrev_b64 v[3:4], 4, v[3:4]
	v_or_b32_e32 v95, 0x70, v81
	v_add_co_u32_e64 v3, s[0:1], s8, v3
	v_addc_co_u32_e64 v4, s[0:1], v7, v4, s[0:1]
	v_add_co_u32_e64 v13, s[0:1], v3, v1
	v_addc_co_u32_e64 v14, s[0:1], v4, v2, s[0:1]
	;; [unrolled: 2-line block ×3, first 2 shown]
	v_or_b32_e32 v1, 0x1000, v15
	v_add_co_u32_e64 v9, s[0:1], v13, v1
	v_addc_co_u32_e64 v10, s[0:1], 0, v14, s[0:1]
	v_or_b32_e32 v1, 0x1200, v15
	v_add_co_u32_e64 v11, s[0:1], v13, v1
	v_addc_co_u32_e64 v12, s[0:1], 0, v14, s[0:1]
	global_load_dwordx4 v[53:56], v[9:10], off
	global_load_dwordx4 v[41:44], v[11:12], off
	;; [unrolled: 1-line block ×3, first 2 shown]
	global_load_dwordx4 v[21:24], v[87:88], off offset:256
	global_load_dwordx4 v[45:48], v[87:88], off offset:512
	;; [unrolled: 1-line block ×9, first 2 shown]
	v_or_b32_e32 v9, 0x1100, v15
	v_add_co_u32_e64 v89, s[0:1], v13, v9
	v_mov_b32_e32 v9, 0x1300
	v_addc_co_u32_e64 v90, s[0:1], 0, v14, s[0:1]
	v_lshl_or_b32 v0, v0, 4, v9
	v_add_co_u32_e64 v91, s[0:1], v13, v0
	v_addc_co_u32_e64 v92, s[0:1], 0, v14, s[0:1]
	global_load_dwordx4 v[57:60], v[87:88], off offset:2560
	global_load_dwordx4 v[17:20], v[87:88], off offset:2816
	global_load_dwordx4 v[77:80], v[87:88], off offset:3072
	global_load_dwordx4 v[37:40], v[87:88], off offset:3328
	global_load_dwordx4 v[61:64], v[87:88], off offset:3584
	global_load_dwordx4 v[13:16], v[87:88], off offset:3840
	global_load_dwordx4 v[33:36], v[89:90], off
	global_load_dwordx4 v[9:12], v[91:92], off
	v_or_b32_e32 v89, 32, v81
	v_or_b32_e32 v92, 64, v81
	v_or_b32_e32 v87, 16, v81
	v_or_b32_e32 v91, 48, v81
	v_or_b32_e32 v97, 0x90, v81
.LBB0_13:
	s_or_b64 exec, exec, s[4:5]
	s_waitcnt vmcnt(5)
	v_add_f64 v[98:99], v[77:78], v[73:74]
	v_add_f64 v[100:101], v[67:68], -v[55:56]
	v_add_f64 v[102:103], v[65:66], v[53:54]
	s_mov_b32 s0, 0x134454ff
	s_mov_b32 s1, 0xbfee6f0e
	;; [unrolled: 1-line block ×4, first 2 shown]
	v_add_f64 v[104:105], v[75:76], -v[79:80]
	v_fma_f64 v[98:99], v[98:99], -0.5, v[69:70]
	v_add_f64 v[106:107], v[65:66], -v[73:74]
	v_add_f64 v[108:109], v[53:54], -v[77:78]
	v_fma_f64 v[102:103], v[102:103], -0.5, v[69:70]
	s_mov_b32 s8, 0x4755a5e
	s_mov_b32 s9, 0xbfe2cf23
	;; [unrolled: 1-line block ×4, first 2 shown]
	v_fma_f64 v[110:111], v[100:101], s[0:1], v[98:99]
	v_fma_f64 v[98:99], v[100:101], s[4:5], v[98:99]
	v_add_f64 v[112:113], v[73:74], -v[65:66]
	v_add_f64 v[106:107], v[108:109], v[106:107]
	v_fma_f64 v[108:109], v[104:105], s[4:5], v[102:103]
	v_fma_f64 v[102:103], v[104:105], s[0:1], v[102:103]
	v_add_f64 v[69:70], v[65:66], v[69:70]
	v_add_f64 v[65:66], v[65:66], -v[53:54]
	v_fma_f64 v[110:111], v[104:105], s[8:9], v[110:111]
	v_fma_f64 v[98:99], v[104:105], s[6:7], v[98:99]
	v_add_f64 v[104:105], v[77:78], -v[53:54]
	s_mov_b32 s14, 0x372fe950
	v_fma_f64 v[108:109], v[100:101], s[8:9], v[108:109]
	v_fma_f64 v[100:101], v[100:101], s[6:7], v[102:103]
	v_add_f64 v[102:103], v[67:68], v[55:56]
	s_mov_b32 s15, 0x3fd3c6ef
	v_add_f64 v[69:70], v[73:74], v[69:70]
	v_fma_f64 v[110:111], v[106:107], s[14:15], v[110:111]
	v_add_f64 v[104:105], v[104:105], v[112:113]
	v_add_f64 v[112:113], v[79:80], v[75:76]
	v_fma_f64 v[106:107], v[106:107], s[14:15], v[98:99]
	v_add_f64 v[73:74], v[73:74], -v[77:78]
	v_fma_f64 v[102:103], v[102:103], -0.5, v[71:72]
	s_mov_b32 s16, 0x9b97f4a8
	v_add_f64 v[69:70], v[77:78], v[69:70]
	s_mov_b32 s17, 0x3fe9e377
	v_fma_f64 v[98:99], v[104:105], s[14:15], v[108:109]
	v_fma_f64 v[112:113], v[112:113], -0.5, v[71:72]
	v_add_f64 v[71:72], v[67:68], v[71:72]
	v_fma_f64 v[100:101], v[104:105], s[14:15], v[100:101]
	v_add_f64 v[104:105], v[67:68], -v[75:76]
	v_add_f64 v[67:68], v[75:76], -v[67:68]
	;; [unrolled: 1-line block ×3, first 2 shown]
	v_add_f64 v[53:54], v[53:54], v[69:70]
	v_fma_f64 v[69:70], v[73:74], s[4:5], v[102:103]
	s_mov_b32 s21, 0xbfe9e377
	v_add_f64 v[71:72], v[75:76], v[71:72]
	v_fma_f64 v[75:76], v[65:66], s[4:5], v[112:113]
	v_fma_f64 v[112:113], v[65:66], s[0:1], v[112:113]
	s_mov_b32 s20, s16
	v_add_f64 v[77:78], v[108:109], v[104:105]
	s_waitcnt vmcnt(3)
	v_add_f64 v[104:105], v[57:58], v[61:62]
	s_mov_b32 s19, 0xbfd3c6ef
	s_mov_b32 s18, s14
	v_add_f64 v[71:72], v[79:80], v[71:72]
	v_fma_f64 v[75:76], v[73:74], s[6:7], v[75:76]
	v_fma_f64 v[108:109], v[73:74], s[8:9], v[112:113]
	;; [unrolled: 1-line block ×3, first 2 shown]
	v_add_f64 v[79:80], v[79:80], -v[55:56]
	v_fma_f64 v[73:74], v[104:105], -0.5, v[45:46]
	v_add_f64 v[104:105], v[59:60], v[63:64]
	v_mul_u32_u24_e32 v82, 0x140, v82
	v_add_f64 v[55:56], v[55:56], v[71:72]
	v_fma_f64 v[102:103], v[77:78], s[14:15], v[75:76]
	v_fma_f64 v[77:78], v[77:78], s[14:15], v[108:109]
	v_add_f64 v[108:109], v[43:44], v[51:52]
	v_add_f64 v[71:72], v[41:42], v[49:50]
	v_fma_f64 v[75:76], v[65:66], s[6:7], v[112:113]
	v_fma_f64 v[104:105], v[104:105], -0.5, v[47:48]
	v_add_f64 v[67:68], v[79:80], v[67:68]
	v_fma_f64 v[65:66], v[65:66], s[8:9], v[69:70]
	v_add_f64 v[69:70], v[49:50], -v[57:58]
	v_add_f64 v[79:80], v[41:42], -v[61:62]
	v_fma_f64 v[108:109], v[108:109], -0.5, v[47:48]
	v_add_f64 v[47:48], v[47:48], v[51:52]
	v_fma_f64 v[71:72], v[71:72], -0.5, v[45:46]
	v_add_f64 v[45:46], v[45:46], v[49:50]
	v_add_f64 v[112:113], v[51:52], -v[43:44]
	v_fma_f64 v[114:115], v[67:68], s[14:15], v[75:76]
	v_fma_f64 v[116:117], v[67:68], s[14:15], v[65:66]
	v_add_f64 v[65:66], v[57:58], -v[49:50]
	v_add_f64 v[67:68], v[79:80], v[69:70]
	v_add_f64 v[47:48], v[59:60], v[47:48]
	v_add_f64 v[49:50], v[49:50], -v[41:42]
	v_add_f64 v[69:70], v[51:52], -v[59:60]
	;; [unrolled: 1-line block ×3, first 2 shown]
	v_add_f64 v[45:46], v[57:58], v[45:46]
	v_add_f64 v[59:60], v[59:60], -v[63:64]
	v_add_f64 v[75:76], v[43:44], -v[63:64]
	v_add_f64 v[57:58], v[57:58], -v[61:62]
	v_add_f64 v[47:48], v[63:64], v[47:48]
	v_add_f64 v[63:64], v[63:64], -v[43:44]
	v_fma_f64 v[79:80], v[112:113], s[0:1], v[73:74]
	v_fma_f64 v[73:74], v[112:113], s[4:5], v[73:74]
	v_add_f64 v[45:46], v[61:62], v[45:46]
	v_add_f64 v[61:62], v[61:62], -v[41:42]
	v_fma_f64 v[118:119], v[59:60], s[4:5], v[71:72]
	v_fma_f64 v[71:72], v[59:60], s[0:1], v[71:72]
	s_load_dwordx2 s[2:3], s[2:3], 0x0
	v_add_f64 v[51:52], v[63:64], v[51:52]
	v_fma_f64 v[63:64], v[49:50], s[4:5], v[104:105]
	v_fma_f64 v[79:80], v[59:60], s[8:9], v[79:80]
	;; [unrolled: 1-line block ×3, first 2 shown]
	v_add_f64 v[61:62], v[61:62], v[65:66]
	v_add_f64 v[65:66], v[75:76], v[69:70]
	v_fma_f64 v[73:74], v[57:58], s[0:1], v[108:109]
	v_fma_f64 v[75:76], v[57:58], s[4:5], v[108:109]
	;; [unrolled: 1-line block ×5, first 2 shown]
	v_add_f64 v[45:46], v[41:42], v[45:46]
	v_fma_f64 v[71:72], v[112:113], s[6:7], v[71:72]
	v_fma_f64 v[59:60], v[67:68], s[14:15], v[59:60]
	;; [unrolled: 1-line block ×9, first 2 shown]
	v_mul_f64 v[69:70], v[41:42], s[8:9]
	v_fma_f64 v[51:52], v[51:52], s[14:15], v[49:50]
	v_add_f64 v[79:80], v[43:44], v[47:48]
	v_fma_f64 v[43:44], v[65:66], s[14:15], v[57:58]
	v_fma_f64 v[61:62], v[61:62], s[14:15], v[71:72]
	v_mul_f64 v[71:72], v[63:64], s[0:1]
	v_mul_f64 v[41:42], v[41:42], s[16:17]
	v_add_f64 v[49:50], v[45:46], v[53:54]
	v_fma_f64 v[47:48], v[73:74], s[16:17], v[69:70]
	v_mul_f64 v[65:66], v[51:52], s[0:1]
	v_mul_f64 v[69:70], v[43:44], s[8:9]
	;; [unrolled: 1-line block ×3, first 2 shown]
	v_fma_f64 v[57:58], v[67:68], s[14:15], v[71:72]
	v_mul_f64 v[67:68], v[67:68], s[4:5]
	v_fma_f64 v[112:113], v[73:74], s[6:7], v[41:42]
	v_mul_f64 v[71:72], v[51:52], s[18:19]
	v_fma_f64 v[104:105], v[61:62], s[18:19], v[65:66]
	v_add_f64 v[41:42], v[79:80], v[55:56]
	v_fma_f64 v[108:109], v[59:60], s[20:21], v[69:70]
	v_fma_f64 v[118:119], v[59:60], s[6:7], v[43:44]
	v_add_f64 v[59:60], v[25:26], v[37:38]
	v_fma_f64 v[63:64], v[63:64], s[14:15], v[67:68]
	v_add_f64 v[65:66], v[98:99], v[57:58]
	v_add_f64 v[43:44], v[102:103], v[112:113]
	;; [unrolled: 1-line block ×3, first 2 shown]
	v_add_f64 v[75:76], v[98:99], -v[57:58]
	v_add_f64 v[98:99], v[100:101], -v[104:105]
	;; [unrolled: 1-line block ×3, first 2 shown]
	s_waitcnt vmcnt(1)
	v_add_f64 v[79:80], v[33:34], v[29:30]
	v_add_f64 v[57:58], v[102:103], -v[112:113]
	v_fma_f64 v[102:103], v[59:60], -0.5, v[21:22]
	v_add_f64 v[104:105], v[31:32], -v[35:36]
	v_add_f64 v[51:52], v[110:111], v[47:48]
	v_fma_f64 v[61:62], v[61:62], s[4:5], v[71:72]
	v_add_f64 v[69:70], v[106:107], v[108:109]
	v_add_f64 v[71:72], v[53:54], -v[45:46]
	v_add_f64 v[45:46], v[114:115], v[63:64]
	v_add_f64 v[73:74], v[110:111], -v[47:48]
	v_add_f64 v[100:101], v[106:107], -v[108:109]
	v_add_f64 v[53:54], v[77:78], v[118:119]
	v_add_f64 v[106:107], v[29:30], -v[25:26]
	v_add_f64 v[59:60], v[114:115], -v[63:64]
	;; [unrolled: 1-line block ×4, first 2 shown]
	v_fma_f64 v[79:80], v[79:80], -0.5, v[21:22]
	v_add_f64 v[63:64], v[77:78], -v[118:119]
	v_fma_f64 v[77:78], v[104:105], s[0:1], v[102:103]
	v_fma_f64 v[102:103], v[104:105], s[4:5], v[102:103]
	v_add_f64 v[47:48], v[116:117], v[61:62]
	v_add_f64 v[61:62], v[116:117], -v[61:62]
	v_add_f64 v[106:107], v[108:109], v[106:107]
	v_add_f64 v[112:113], v[27:28], v[39:40]
	v_fma_f64 v[108:109], v[110:111], s[4:5], v[79:80]
	v_fma_f64 v[79:80], v[110:111], s[0:1], v[79:80]
	;; [unrolled: 1-line block ×4, first 2 shown]
	v_add_f64 v[110:111], v[35:36], v[31:32]
	v_add_f64 v[21:22], v[21:22], v[29:30]
	v_add_f64 v[114:115], v[25:26], -v[29:30]
	v_add_f64 v[116:117], v[37:38], -v[33:34]
	v_fma_f64 v[112:113], v[112:113], -0.5, v[23:24]
	v_fma_f64 v[108:109], v[104:105], s[8:9], v[108:109]
	v_add_f64 v[29:30], v[29:30], -v[33:34]
	v_fma_f64 v[79:80], v[104:105], s[6:7], v[79:80]
	v_fma_f64 v[110:111], v[110:111], -0.5, v[23:24]
	v_add_f64 v[23:24], v[23:24], v[31:32]
	v_add_f64 v[21:22], v[25:26], v[21:22]
	;; [unrolled: 1-line block ×3, first 2 shown]
	v_fma_f64 v[77:78], v[106:107], s[14:15], v[77:78]
	v_fma_f64 v[102:103], v[106:107], s[14:15], v[102:103]
	v_add_f64 v[104:105], v[31:32], -v[27:28]
	v_add_f64 v[31:32], v[27:28], -v[31:32]
	;; [unrolled: 1-line block ×3, first 2 shown]
	v_add_f64 v[23:24], v[27:28], v[23:24]
	v_add_f64 v[21:22], v[37:38], v[21:22]
	v_add_f64 v[27:28], v[35:36], -v[39:40]
	v_fma_f64 v[37:38], v[114:115], s[14:15], v[108:109]
	v_fma_f64 v[106:107], v[29:30], s[4:5], v[112:113]
	;; [unrolled: 1-line block ×3, first 2 shown]
	v_add_f64 v[112:113], v[13:14], v[17:18]
	v_fma_f64 v[79:80], v[114:115], s[14:15], v[79:80]
	v_add_f64 v[23:24], v[39:40], v[23:24]
	v_add_f64 v[39:40], v[39:40], -v[35:36]
	v_add_f64 v[27:28], v[27:28], v[104:105]
	v_fma_f64 v[104:105], v[25:26], s[0:1], v[110:111]
	v_add_f64 v[21:22], v[33:34], v[21:22]
	v_fma_f64 v[33:34], v[25:26], s[4:5], v[110:111]
	v_fma_f64 v[106:107], v[25:26], s[6:7], v[106:107]
	;; [unrolled: 1-line block ×3, first 2 shown]
	v_add_f64 v[35:36], v[35:36], v[23:24]
	v_fma_f64 v[23:24], v[112:113], -0.5, v[5:6]
	v_add_f64 v[31:32], v[39:40], v[31:32]
	v_fma_f64 v[104:105], v[29:30], s[6:7], v[104:105]
	s_waitcnt vmcnt(0)
	v_add_f64 v[39:40], v[3:4], -v[11:12]
	v_fma_f64 v[29:30], v[29:30], s[8:9], v[33:34]
	v_fma_f64 v[33:34], v[27:28], s[14:15], v[106:107]
	;; [unrolled: 1-line block ×3, first 2 shown]
	v_add_f64 v[25:26], v[1:2], v[9:10]
	v_add_f64 v[27:28], v[15:16], v[19:20]
	;; [unrolled: 1-line block ×3, first 2 shown]
	v_add_f64 v[110:111], v[1:2], -v[17:18]
	v_add_f64 v[112:113], v[9:10], -v[13:14]
	v_fma_f64 v[104:105], v[31:32], s[14:15], v[104:105]
	v_fma_f64 v[114:115], v[31:32], s[14:15], v[29:30]
	v_add_f64 v[29:30], v[1:2], v[5:6]
	v_fma_f64 v[5:6], v[25:26], -0.5, v[5:6]
	v_fma_f64 v[25:26], v[27:28], -0.5, v[7:8]
	;; [unrolled: 1-line block ×3, first 2 shown]
	v_add_f64 v[7:8], v[3:4], v[7:8]
	v_fma_f64 v[31:32], v[39:40], s[0:1], v[23:24]
	v_add_f64 v[108:109], v[112:113], v[110:111]
	v_add_f64 v[110:111], v[19:20], -v[15:16]
	v_fma_f64 v[23:24], v[39:40], s[4:5], v[23:24]
	v_add_f64 v[116:117], v[3:4], -v[19:20]
	v_add_f64 v[29:30], v[17:18], v[29:30]
	v_add_f64 v[7:8], v[19:20], v[7:8]
	v_fma_f64 v[31:32], v[110:111], s[8:9], v[31:32]
	v_fma_f64 v[23:24], v[110:111], s[6:7], v[23:24]
	;; [unrolled: 1-line block ×4, first 2 shown]
	v_add_f64 v[110:111], v[17:18], -v[1:2]
	v_add_f64 v[0:1], v[1:2], -v[9:10]
	;; [unrolled: 1-line block ×5, first 2 shown]
	v_fma_f64 v[4:5], v[39:40], s[6:7], v[5:6]
	v_add_f64 v[6:7], v[15:16], v[7:8]
	v_fma_f64 v[118:119], v[0:1], s[4:5], v[25:26]
	v_fma_f64 v[25:26], v[0:1], s[0:1], v[25:26]
	v_add_f64 v[19:20], v[19:20], v[116:117]
	v_add_f64 v[116:117], v[15:16], -v[11:12]
	v_fma_f64 v[15:16], v[108:109], s[14:15], v[23:24]
	v_add_f64 v[2:3], v[116:117], v[2:3]
	v_fma_f64 v[116:117], v[17:18], s[0:1], v[27:28]
	v_fma_f64 v[27:28], v[17:18], s[4:5], v[27:28]
	;; [unrolled: 1-line block ×6, first 2 shown]
	v_add_f64 v[25:26], v[13:14], -v[9:10]
	v_add_f64 v[13:14], v[13:14], v[29:30]
	v_fma_f64 v[27:28], v[19:20], s[14:15], v[27:28]
	v_fma_f64 v[17:18], v[19:20], s[14:15], v[17:18]
	v_add_f64 v[25:26], v[25:26], v[110:111]
	v_fma_f64 v[110:111], v[39:40], s[8:9], v[112:113]
	v_add_f64 v[29:30], v[9:10], v[13:14]
	v_fma_f64 v[13:14], v[2:3], s[14:15], v[116:117]
	v_fma_f64 v[2:3], v[2:3], s[14:15], v[0:1]
	;; [unrolled: 1-line block ×3, first 2 shown]
	v_mul_f64 v[19:20], v[27:28], s[8:9]
	v_add_f64 v[39:40], v[11:12], v[6:7]
	v_fma_f64 v[4:5], v[25:26], s[14:15], v[4:5]
	v_fma_f64 v[23:24], v[25:26], s[14:15], v[110:111]
	v_mul_f64 v[25:26], v[17:18], s[8:9]
	v_mul_f64 v[6:7], v[13:14], s[0:1]
	;; [unrolled: 1-line block ×4, first 2 shown]
	v_fma_f64 v[31:32], v[9:10], s[16:17], v[19:20]
	v_mul_f64 v[8:9], v[9:10], s[6:7]
	v_add_f64 v[0:1], v[21:22], v[29:30]
	v_mul_f64 v[19:20], v[23:24], s[4:5]
	v_fma_f64 v[112:113], v[15:16], s[20:21], v[25:26]
	v_fma_f64 v[23:24], v[23:24], s[14:15], v[6:7]
	v_mul_f64 v[6:7], v[17:18], s[20:21]
	v_fma_f64 v[110:111], v[4:5], s[18:19], v[11:12]
	v_add_f64 v[2:3], v[77:78], v[31:32]
	v_fma_f64 v[116:117], v[27:28], s[16:17], v[8:9]
	v_fma_f64 v[108:109], v[4:5], s[4:5], v[108:109]
	;; [unrolled: 1-line block ×3, first 2 shown]
	v_add_f64 v[8:9], v[102:103], v[112:113]
	v_add_f64 v[4:5], v[37:38], v[23:24]
	v_fma_f64 v[120:121], v[15:16], s[6:7], v[6:7]
	v_add_f64 v[6:7], v[79:80], v[110:111]
	v_add_f64 v[10:11], v[21:22], -v[29:30]
	v_add_f64 v[20:21], v[77:78], -v[31:32]
	;; [unrolled: 1-line block ×3, first 2 shown]
	v_lshlrev_b32_e32 v77, 3, v82
	v_add_f64 v[12:13], v[35:36], v[39:40]
	v_add_f64 v[28:29], v[79:80], -v[110:111]
	v_add_f64 v[30:31], v[102:103], -v[112:113]
	;; [unrolled: 1-line block ×3, first 2 shown]
	v_mul_u32_u24_e32 v40, 10, v81
	v_add_u32_e32 v80, 0, v77
	v_lshl_add_u32 v40, v40, 3, v80
	ds_write_b128 v40, v[49:52]
	ds_write_b128 v40, v[65:68] offset:16
	ds_write_b128 v40, v[69:72] offset:32
	;; [unrolled: 1-line block ×4, first 2 shown]
	v_mul_i32_i24_e32 v49, 10, v87
	v_lshl_add_u32 v82, v49, 3, v80
	v_add_f64 v[14:15], v[33:34], v[116:117]
	ds_write_b128 v82, v[0:3]
	ds_write_b128 v82, v[4:7] offset:16
	ds_write_b128 v82, v[8:11] offset:32
	;; [unrolled: 1-line block ×4, first 2 shown]
	v_lshlrev_b32_e32 v0, 3, v81
	v_add_f64 v[16:17], v[104:105], v[118:119]
	v_add_f64 v[18:19], v[114:115], v[108:109]
	v_add3_u32 v65, 0, v0, v77
	v_add_f64 v[24:25], v[106:107], v[120:121]
	v_add_u32_e32 v66, v80, v0
	s_movk_i32 s0, 0xffb8
	v_add_u32_e32 v72, 0x800, v65
	v_lshl_add_u32 v70, v89, 3, v80
	v_lshl_add_u32 v75, v92, 3, v80
	v_add_f64 v[32:33], v[33:34], -v[116:117]
	v_add_f64 v[34:35], v[104:105], -v[118:119]
	v_add_f64 v[36:37], v[114:115], -v[108:109]
	v_add_f64 v[38:39], v[106:107], -v[120:121]
	s_waitcnt lgkmcnt(0)
	; wave barrier
	s_waitcnt lgkmcnt(0)
	v_lshl_add_u32 v67, v93, 3, v80
	ds_read2_b64 v[8:11], v65 offset0:160 offset1:176
	ds_read2_b64 v[98:101], v65 offset0:224 offset1:240
	v_mad_i32_i24 v68, v87, s0, v82
	v_lshl_add_u32 v69, v94, 3, v80
	ds_read_b64 v[49:50], v66
	ds_read_b64 v[78:79], v67
	;; [unrolled: 1-line block ×4, first 2 shown]
	ds_read2_b64 v[102:105], v72 offset1:16
	v_lshl_add_u32 v71, v95, 3, v80
	ds_read2_b64 v[106:109], v65 offset0:192 offset1:208
	v_lshl_add_u32 v73, v91, 3, v80
	v_lshl_add_u32 v74, v96, 3, v80
	ds_read_b64 v[2:3], v70
	ds_read_b64 v[116:117], v71
	;; [unrolled: 1-line block ×4, first 2 shown]
	ds_read2_b64 v[110:113], v72 offset0:32 offset1:48
	v_lshl_add_u32 v76, v97, 3, v80
	ds_read_b64 v[4:5], v75
	ds_read_b64 v[51:52], v76
	s_waitcnt lgkmcnt(0)
	; wave barrier
	s_waitcnt lgkmcnt(0)
	ds_write_b128 v40, v[41:44]
	ds_write_b128 v40, v[45:48] offset:16
	ds_write_b128 v40, v[53:56] offset:32
	;; [unrolled: 1-line block ×4, first 2 shown]
	ds_write_b128 v82, v[12:15]
	ds_write_b128 v82, v[16:19] offset:16
	ds_write_b128 v82, v[24:27] offset:32
	ds_write_b128 v82, v[32:35] offset:48
	ds_write_b128 v82, v[36:39] offset:64
	v_add_u32_e32 v12, -10, v81
	v_cmp_gt_u32_e64 s[0:1], 10, v81
	v_cndmask_b32_e64 v80, v12, v81, s[0:1]
	v_mul_i32_i24_e32 v19, 3, v80
	v_mov_b32_e32 v20, 0
	v_lshlrev_b64 v[12:13], 4, v[19:20]
	v_mov_b32_e32 v43, s13
	v_add_co_u32_e64 v120, s[0:1], s12, v12
	v_addc_co_u32_e64 v121, s[0:1], v43, v13, s[0:1]
	s_movk_i32 s0, 0xcd
	v_mul_lo_u16_sdwa v16, v87, s0 dst_sel:DWORD dst_unused:UNUSED_PAD src0_sel:BYTE_0 src1_sel:DWORD
	v_lshrrev_b16_e32 v55, 11, v16
	v_mul_lo_u16_e32 v16, 10, v55
	v_sub_u16_e32 v56, v87, v16
	v_mov_b32_e32 v44, 3
	v_mul_u32_u24_sdwa v16, v56, v44 dst_sel:DWORD dst_unused:UNUSED_PAD src0_sel:BYTE_0 src1_sel:DWORD
	s_waitcnt lgkmcnt(0)
	; wave barrier
	s_waitcnt lgkmcnt(0)
	global_load_dwordx4 v[12:15], v[120:121], off offset:16
	v_lshlrev_b32_e32 v82, 4, v16
	global_load_dwordx4 v[21:24], v82, s[12:13] offset:16
	global_load_dwordx4 v[27:30], v82, s[12:13] offset:32
	v_mul_lo_u16_sdwa v16, v89, s0 dst_sel:DWORD dst_unused:UNUSED_PAD src0_sel:BYTE_0 src1_sel:DWORD
	v_lshrrev_b16_e32 v45, 11, v16
	v_mul_lo_u16_e32 v16, 10, v45
	v_sub_u16_e32 v46, v89, v16
	v_mul_u32_u24_sdwa v16, v46, v44 dst_sel:DWORD dst_unused:UNUSED_PAD src0_sel:BYTE_0 src1_sel:DWORD
	v_lshlrev_b32_e32 v88, 4, v16
	global_load_dwordx4 v[33:36], v88, s[12:13] offset:32
	global_load_dwordx4 v[37:40], v88, s[12:13] offset:16
	ds_read2_b64 v[16:19], v65 offset0:160 offset1:176
	global_load_dwordx4 v[61:64], v[120:121], off offset:32
	v_lshlrev_b32_e32 v80, 3, v80
	s_movk_i32 s4, 0x140
	s_waitcnt vmcnt(5) lgkmcnt(0)
	v_mul_f64 v[25:26], v[16:17], v[14:15]
	s_waitcnt vmcnt(4)
	v_mul_f64 v[31:32], v[18:19], v[23:24]
	v_mul_f64 v[23:24], v[10:11], v[23:24]
	v_mul_f64 v[14:15], v[8:9], v[14:15]
	v_fma_f64 v[122:123], v[8:9], v[12:13], v[25:26]
	v_fma_f64 v[25:26], v[10:11], v[21:22], v[31:32]
	v_fma_f64 v[8:9], v[18:19], v[21:22], -v[23:24]
	v_mul_lo_u16_sdwa v21, v91, s0 dst_sel:DWORD dst_unused:UNUSED_PAD src0_sel:BYTE_0 src1_sel:DWORD
	v_lshrrev_b16_e32 v47, 11, v21
	v_mul_lo_u16_e32 v21, 10, v47
	v_sub_u16_e32 v48, v91, v21
	v_mul_u32_u24_sdwa v21, v48, v44 dst_sel:DWORD dst_unused:UNUSED_PAD src0_sel:BYTE_0 src1_sel:DWORD
	v_lshlrev_b32_e32 v90, 4, v21
	global_load_dwordx4 v[57:60], v90, s[12:13] offset:16
	v_fma_f64 v[16:17], v[16:17], v[12:13], -v[14:15]
	ds_read2_b64 v[12:15], v72 offset1:16
	s_waitcnt vmcnt(4)
	v_mul_f64 v[18:19], v[102:103], v[29:30]
	v_add_f64 v[25:26], v[6:7], -v[25:26]
	s_waitcnt lgkmcnt(0)
	v_mul_f64 v[10:11], v[12:13], v[29:30]
	v_fma_f64 v[29:30], v[12:13], v[27:28], -v[18:19]
	v_fma_f64 v[6:7], v[6:7], 2.0, -v[25:26]
	v_fma_f64 v[31:32], v[102:103], v[27:28], v[10:11]
	s_waitcnt vmcnt(3)
	v_mul_f64 v[10:11], v[14:15], v[35:36]
	s_waitcnt vmcnt(2)
	v_mul_f64 v[27:28], v[106:107], v[39:40]
	v_fma_f64 v[21:22], v[104:105], v[33:34], v[10:11]
	v_mul_f64 v[10:11], v[104:105], v[35:36]
	ds_read_b64 v[104:105], v71
	v_fma_f64 v[18:19], v[14:15], v[33:34], -v[10:11]
	ds_read2_b64 v[10:13], v65 offset0:192 offset1:208
	s_waitcnt lgkmcnt(0)
	v_mul_f64 v[14:15], v[10:11], v[39:40]
	v_fma_f64 v[10:11], v[10:11], v[37:38], -v[27:28]
	v_fma_f64 v[23:24], v[106:107], v[37:38], v[14:15]
	ds_read2_b64 v[35:38], v65 offset0:224 offset1:240
	v_add_f64 v[23:24], v[2:3], -v[23:24]
	v_fma_f64 v[2:3], v[2:3], 2.0, -v[23:24]
	s_waitcnt vmcnt(0)
	v_mul_f64 v[14:15], v[12:13], v[59:60]
	v_mul_f64 v[33:34], v[108:109], v[59:60]
	v_fma_f64 v[27:28], v[108:109], v[57:58], v[14:15]
	s_waitcnt lgkmcnt(0)
	v_mul_f64 v[14:15], v[37:38], v[63:64]
	v_fma_f64 v[12:13], v[12:13], v[57:58], -v[33:34]
	v_mul_f64 v[33:34], v[100:101], v[63:64]
	ds_read2_b64 v[57:60], v72 offset0:32 offset1:48
	ds_read_b64 v[108:109], v74
	v_fma_f64 v[100:101], v[100:101], v[61:62], v[14:15]
	v_mul_lo_u16_sdwa v14, v92, s0 dst_sel:DWORD dst_unused:UNUSED_PAD src0_sel:BYTE_0 src1_sel:DWORD
	v_lshrrev_b16_e32 v53, 11, v14
	v_mul_lo_u16_e32 v14, 10, v53
	v_sub_u16_e32 v54, v92, v14
	v_mul_u32_u24_sdwa v14, v54, v44 dst_sel:DWORD dst_unused:UNUSED_PAD src0_sel:BYTE_0 src1_sel:DWORD
	v_lshlrev_b32_e32 v124, 4, v14
	v_fma_f64 v[102:103], v[37:38], v[61:62], -v[33:34]
	global_load_dwordx4 v[37:40], v124, s[12:13] offset:16
	global_load_dwordx4 v[61:64], v124, s[12:13] offset:32
	v_cmp_lt_u32_e64 s[0:1], 9, v81
	s_waitcnt vmcnt(1)
	v_mul_f64 v[14:15], v[35:36], v[39:40]
	v_fma_f64 v[33:34], v[98:99], v[37:38], v[14:15]
	v_mul_f64 v[14:15], v[98:99], v[39:40]
	v_fma_f64 v[14:15], v[35:36], v[37:38], -v[14:15]
	global_load_dwordx4 v[35:38], v90, s[12:13] offset:32
	s_waitcnt vmcnt(0) lgkmcnt(1)
	v_mul_f64 v[39:40], v[57:58], v[37:38]
	v_mul_f64 v[37:38], v[110:111], v[37:38]
	v_fma_f64 v[39:40], v[110:111], v[35:36], v[39:40]
	v_fma_f64 v[35:36], v[57:58], v[35:36], -v[37:38]
	v_mul_f64 v[37:38], v[59:60], v[63:64]
	v_fma_f64 v[41:42], v[112:113], v[61:62], v[37:38]
	v_mul_f64 v[37:38], v[112:113], v[63:64]
	ds_read_b64 v[112:113], v76
	v_fma_f64 v[37:38], v[59:60], v[61:62], -v[37:38]
	global_load_dwordx4 v[57:60], v[120:121], off
	ds_read_b64 v[61:62], v67
	s_waitcnt vmcnt(0) lgkmcnt(0)
	v_mul_f64 v[63:64], v[61:62], v[59:60]
	v_mul_f64 v[59:60], v[78:79], v[59:60]
	v_fma_f64 v[63:64], v[78:79], v[57:58], v[63:64]
	v_fma_f64 v[61:62], v[61:62], v[57:58], -v[59:60]
	global_load_dwordx4 v[57:60], v82, s[12:13]
	ds_read_b64 v[78:79], v69
	v_mov_b32_e32 v82, 0x140
	v_cndmask_b32_e64 v82, 0, v82, s[0:1]
	v_add_u32_e32 v82, 0, v82
	v_add3_u32 v80, v82, v80, v77
	s_waitcnt vmcnt(0) lgkmcnt(0)
	v_mul_f64 v[98:99], v[78:79], v[59:60]
	v_mul_f64 v[59:60], v[114:115], v[59:60]
	v_fma_f64 v[98:99], v[114:115], v[57:58], v[98:99]
	v_fma_f64 v[78:79], v[78:79], v[57:58], -v[59:60]
	global_load_dwordx4 v[57:60], v88, s[12:13]
	s_waitcnt vmcnt(0)
	v_mul_f64 v[106:107], v[104:105], v[59:60]
	v_mul_f64 v[59:60], v[116:117], v[59:60]
	v_fma_f64 v[106:107], v[116:117], v[57:58], v[106:107]
	v_fma_f64 v[104:105], v[104:105], v[57:58], -v[59:60]
	global_load_dwordx4 v[57:60], v90, s[12:13]
	v_add_f64 v[18:19], v[104:105], -v[18:19]
	s_waitcnt vmcnt(0)
	v_mul_f64 v[110:111], v[108:109], v[59:60]
	v_mul_f64 v[59:60], v[118:119], v[59:60]
	v_fma_f64 v[110:111], v[118:119], v[57:58], v[110:111]
	v_fma_f64 v[108:109], v[108:109], v[57:58], -v[59:60]
	global_load_dwordx4 v[57:60], v124, s[12:13]
	s_waitcnt vmcnt(0)
	v_mul_f64 v[114:115], v[112:113], v[59:60]
	v_fma_f64 v[114:115], v[51:52], v[57:58], v[114:115]
	v_mul_f64 v[51:52], v[51:52], v[59:60]
	v_add_f64 v[59:60], v[63:64], -v[100:101]
	v_add_f64 v[100:101], v[61:62], -v[102:103]
	v_fma_f64 v[51:52], v[112:113], v[57:58], -v[51:52]
	v_add_f64 v[57:58], v[49:50], -v[122:123]
	v_fma_f64 v[63:64], v[63:64], 2.0, -v[59:60]
	ds_read_b64 v[112:113], v68
	ds_read_b64 v[116:117], v73
	ds_read_b64 v[118:119], v66
	ds_read_b64 v[120:121], v70
	ds_read_b64 v[122:123], v75
	s_waitcnt lgkmcnt(0)
	; wave barrier
	s_waitcnt lgkmcnt(0)
	v_add_f64 v[8:9], v[112:113], -v[8:9]
	v_add_f64 v[10:11], v[120:121], -v[10:11]
	;; [unrolled: 1-line block ×3, first 2 shown]
	v_fma_f64 v[49:50], v[49:50], 2.0, -v[57:58]
	v_add_f64 v[102:103], v[57:58], v[100:101]
	v_add_f64 v[14:15], v[122:123], -v[14:15]
	v_add_f64 v[63:64], v[49:50], -v[63:64]
	v_fma_f64 v[57:58], v[57:58], 2.0, -v[102:103]
	v_fma_f64 v[49:50], v[49:50], 2.0, -v[63:64]
	ds_write2_b64 v80, v[49:50], v[57:58] offset1:10
	ds_write2_b64 v80, v[63:64], v[102:103] offset0:20 offset1:30
	v_mad_u32_u24 v49, v55, s4, 0
	v_lshlrev_b32_sdwa v50, v44, v56 dst_sel:DWORD dst_unused:UNUSED_PAD src0_sel:DWORD src1_sel:BYTE_0
	v_add3_u32 v82, v49, v50, v77
	v_add_f64 v[49:50], v[98:99], -v[31:32]
	v_add_f64 v[55:56], v[78:79], -v[29:30]
	;; [unrolled: 1-line block ×3, first 2 shown]
	v_fma_f64 v[21:22], v[61:62], 2.0, -v[100:101]
	v_add_f64 v[61:62], v[110:111], -v[39:40]
	v_add_f64 v[100:101], v[108:109], -v[35:36]
	;; [unrolled: 1-line block ×3, first 2 shown]
	v_add_f64 v[37:38], v[23:24], v[18:19]
	v_fma_f64 v[31:32], v[98:99], 2.0, -v[49:50]
	v_add_f64 v[29:30], v[25:26], v[55:56]
	v_add_f64 v[63:64], v[114:115], -v[41:42]
	v_fma_f64 v[18:19], v[104:105], 2.0, -v[18:19]
	v_fma_f64 v[104:105], v[122:123], 2.0, -v[14:15]
	;; [unrolled: 1-line block ×3, first 2 shown]
	v_add_f64 v[31:32], v[6:7], -v[31:32]
	v_fma_f64 v[25:26], v[25:26], 2.0, -v[29:30]
	v_fma_f64 v[35:36], v[114:115], 2.0, -v[63:64]
	v_add_f64 v[63:64], v[14:15], -v[63:64]
	v_fma_f64 v[6:7], v[6:7], 2.0, -v[31:32]
	ds_write2_b64 v82, v[31:32], v[29:30] offset0:20 offset1:30
	v_fma_f64 v[14:15], v[14:15], 2.0, -v[63:64]
	ds_write2_b64 v82, v[6:7], v[25:26] offset1:10
	v_add_f64 v[6:7], v[118:119], -v[16:17]
	v_add_f64 v[25:26], v[0:1], -v[27:28]
	v_add_f64 v[27:28], v[4:5], -v[33:34]
	v_fma_f64 v[33:34], v[106:107], 2.0, -v[57:58]
	v_add_f64 v[57:58], v[10:11], -v[57:58]
	v_fma_f64 v[16:17], v[118:119], 2.0, -v[6:7]
	v_fma_f64 v[0:1], v[0:1], 2.0, -v[25:26]
	v_add_f64 v[59:60], v[6:7], -v[59:60]
	v_add_f64 v[33:34], v[2:3], -v[33:34]
	v_add_f64 v[29:30], v[25:26], v[100:101]
	v_fma_f64 v[4:5], v[4:5], 2.0, -v[27:28]
	v_add_f64 v[98:99], v[16:17], -v[21:22]
	v_fma_f64 v[21:22], v[110:111], 2.0, -v[61:62]
	v_fma_f64 v[110:111], v[6:7], 2.0, -v[59:60]
	;; [unrolled: 1-line block ×4, first 2 shown]
	v_add_f64 v[31:32], v[4:5], -v[35:36]
	v_add_f64 v[35:36], v[27:28], v[102:103]
	v_fma_f64 v[102:103], v[116:117], 2.0, -v[12:13]
	v_fma_f64 v[106:107], v[16:17], 2.0, -v[98:99]
	v_add_f64 v[21:22], v[0:1], -v[21:22]
	v_fma_f64 v[16:17], v[25:26], 2.0, -v[29:30]
	v_mad_u32_u24 v25, v45, s4, 0
	v_lshlrev_b32_sdwa v26, v44, v46 dst_sel:DWORD dst_unused:UNUSED_PAD src0_sel:DWORD src1_sel:BYTE_0
	v_add3_u32 v88, v25, v26, v77
	ds_write2_b64 v88, v[2:3], v[6:7] offset1:10
	ds_write2_b64 v88, v[33:34], v[37:38] offset0:20 offset1:30
	v_mad_u32_u24 v2, v47, s4, 0
	v_lshlrev_b32_sdwa v3, v44, v48 dst_sel:DWORD dst_unused:UNUSED_PAD src0_sel:DWORD src1_sel:BYTE_0
	v_fma_f64 v[0:1], v[0:1], 2.0, -v[21:22]
	v_add3_u32 v90, v2, v3, v77
	ds_write2_b64 v90, v[0:1], v[16:17] offset1:10
	ds_write2_b64 v90, v[21:22], v[29:30] offset0:20 offset1:30
	v_mad_u32_u24 v0, v53, s4, 0
	v_lshlrev_b32_sdwa v1, v44, v54 dst_sel:DWORD dst_unused:UNUSED_PAD src0_sel:DWORD src1_sel:BYTE_0
	v_fma_f64 v[53:54], v[78:79], 2.0, -v[55:56]
	v_fma_f64 v[78:79], v[112:113], 2.0, -v[8:9]
	;; [unrolled: 1-line block ×4, first 2 shown]
	v_add_f64 v[48:49], v[8:9], -v[49:50]
	v_add_f64 v[61:62], v[12:13], -v[61:62]
	;; [unrolled: 1-line block ×3, first 2 shown]
	v_fma_f64 v[4:5], v[4:5], 2.0, -v[31:32]
	v_fma_f64 v[23:24], v[27:28], 2.0, -v[35:36]
	v_add_f64 v[53:54], v[78:79], -v[53:54]
	v_add_f64 v[55:56], v[102:103], -v[55:56]
	;; [unrolled: 1-line block ×3, first 2 shown]
	v_fma_f64 v[8:9], v[8:9], 2.0, -v[48:49]
	v_fma_f64 v[10:11], v[10:11], 2.0, -v[57:58]
	;; [unrolled: 1-line block ×3, first 2 shown]
	v_add3_u32 v124, v0, v1, v77
	v_fma_f64 v[104:105], v[104:105], 2.0, -v[50:51]
	v_fma_f64 v[78:79], v[78:79], 2.0, -v[53:54]
	;; [unrolled: 1-line block ×4, first 2 shown]
	ds_write2_b64 v124, v[4:5], v[23:24] offset1:10
	ds_write2_b64 v124, v[31:32], v[35:36] offset0:20 offset1:30
	s_waitcnt lgkmcnt(0)
	; wave barrier
	s_waitcnt lgkmcnt(0)
	ds_read2_b64 v[27:30], v65 offset0:160 offset1:176
	ds_read2_b64 v[31:34], v65 offset0:224 offset1:240
	ds_read_b64 v[16:17], v66
	ds_read_b64 v[114:115], v67
	;; [unrolled: 1-line block ×10, first 2 shown]
	ds_read2_b64 v[35:38], v72 offset1:16
	ds_read2_b64 v[39:42], v65 offset0:192 offset1:208
	ds_read2_b64 v[44:47], v72 offset0:32 offset1:48
	s_waitcnt lgkmcnt(0)
	; wave barrier
	s_waitcnt lgkmcnt(0)
	ds_write2_b64 v80, v[106:107], v[110:111] offset1:10
	ds_write2_b64 v80, v[98:99], v[59:60] offset0:20 offset1:30
	ds_write2_b64 v82, v[78:79], v[8:9] offset1:10
	ds_write2_b64 v82, v[53:54], v[48:49] offset0:20 offset1:30
	;; [unrolled: 2-line block ×5, first 2 shown]
	v_mul_u32_u24_e32 v8, 3, v81
	v_lshlrev_b32_e32 v15, 4, v8
	s_waitcnt lgkmcnt(0)
	; wave barrier
	s_waitcnt lgkmcnt(0)
	global_load_dwordx4 v[9:12], v15, s[12:13] offset:496
	v_mul_i32_i24_e32 v19, 3, v87
	v_lshlrev_b64 v[13:14], 4, v[19:20]
	v_add_u32_e32 v8, -8, v81
	v_add_co_u32_e64 v13, s[0:1], s12, v13
	v_addc_co_u32_e64 v14, s[0:1], v43, v14, s[0:1]
	global_load_dwordx4 v[48:51], v[13:14], off offset:496
	global_load_dwordx4 v[52:55], v[13:14], off offset:512
	v_cmp_gt_u32_e64 s[0:1], 40, v89
	v_cndmask_b32_e64 v8, v8, v89, s[0:1]
	v_mul_i32_i24_e32 v19, 3, v8
	v_lshlrev_b64 v[18:19], 4, v[19:20]
	v_add_co_u32_e64 v18, s[0:1], s12, v18
	v_addc_co_u32_e64 v19, s[0:1], v43, v19, s[0:1]
	global_load_dwordx4 v[56:59], v[18:19], off offset:512
	global_load_dwordx4 v[60:63], v15, s[12:13] offset:480
	global_load_dwordx4 v[102:105], v[13:14], off offset:480
	ds_read2_b64 v[98:101], v65 offset0:160 offset1:176
	v_cmp_lt_u32_e64 s[0:1], 39, v89
	s_waitcnt vmcnt(5) lgkmcnt(0)
	v_mul_f64 v[13:14], v[98:99], v[11:12]
	v_mul_f64 v[11:12], v[27:28], v[11:12]
	s_waitcnt vmcnt(4)
	v_mul_f64 v[78:79], v[100:101], v[50:51]
	v_mul_f64 v[50:51], v[29:30], v[50:51]
	v_fma_f64 v[106:107], v[27:28], v[9:10], v[13:14]
	v_fma_f64 v[98:99], v[98:99], v[9:10], -v[11:12]
	global_load_dwordx4 v[9:12], v[18:19], off offset:496
	v_fma_f64 v[78:79], v[29:30], v[48:49], v[78:79]
	v_fma_f64 v[100:101], v[100:101], v[48:49], -v[50:51]
	global_load_dwordx4 v[48:51], v15, s[12:13] offset:880
	ds_read2_b64 v[27:30], v72 offset1:16
	s_waitcnt vmcnt(5) lgkmcnt(0)
	v_mul_f64 v[13:14], v[27:28], v[54:55]
	v_mul_f64 v[54:55], v[35:36], v[54:55]
	v_fma_f64 v[108:109], v[35:36], v[52:53], v[13:14]
	v_fma_f64 v[110:111], v[27:28], v[52:53], -v[54:55]
	global_load_dwordx4 v[52:55], v15, s[12:13] offset:512
	s_waitcnt vmcnt(5)
	v_mul_f64 v[13:14], v[29:30], v[58:59]
	ds_read_b64 v[27:28], v67
	v_fma_f64 v[112:113], v[37:38], v[56:57], v[13:14]
	v_mul_f64 v[13:14], v[37:38], v[58:59]
	ds_read_b64 v[58:59], v69
	s_waitcnt vmcnt(3) lgkmcnt(0)
	v_mul_f64 v[35:36], v[58:59], v[104:105]
	v_fma_f64 v[56:57], v[29:30], v[56:57], -v[13:14]
	v_mul_f64 v[13:14], v[27:28], v[62:63]
	v_mul_f64 v[29:30], v[114:115], v[62:63]
	v_fma_f64 v[62:63], v[114:115], v[60:61], v[13:14]
	v_mul_f64 v[13:14], v[118:119], v[104:105]
	v_fma_f64 v[104:105], v[118:119], v[102:103], v[35:36]
	global_load_dwordx4 v[35:38], v15, s[12:13] offset:1648
	v_fma_f64 v[60:61], v[27:28], v[60:61], -v[29:30]
	ds_read2_b64 v[27:30], v65 offset0:192 offset1:208
	v_fma_f64 v[58:59], v[58:59], v[102:103], -v[13:14]
	s_waitcnt vmcnt(3) lgkmcnt(0)
	v_mul_f64 v[13:14], v[27:28], v[11:12]
	v_mul_f64 v[11:12], v[39:40], v[11:12]
	s_waitcnt vmcnt(2)
	v_mul_f64 v[102:103], v[29:30], v[50:51]
	v_fma_f64 v[39:40], v[39:40], v[9:10], v[13:14]
	v_mul_f64 v[13:14], v[41:42], v[50:51]
	v_fma_f64 v[114:115], v[27:28], v[9:10], -v[11:12]
	ds_read2_b64 v[9:12], v65 offset0:224 offset1:240
	v_fma_f64 v[41:42], v[41:42], v[48:49], v[102:103]
	v_add_f64 v[39:40], v[6:7], -v[39:40]
	v_fma_f64 v[48:49], v[29:30], v[48:49], -v[13:14]
	global_load_dwordx4 v[27:30], v15, s[12:13] offset:896
	s_waitcnt vmcnt(2) lgkmcnt(0)
	v_mul_f64 v[13:14], v[11:12], v[54:55]
	v_mul_f64 v[50:51], v[33:34], v[54:55]
	v_fma_f64 v[6:7], v[6:7], 2.0, -v[39:40]
	v_fma_f64 v[54:55], v[33:34], v[52:53], v[13:14]
	v_fma_f64 v[50:51], v[11:12], v[52:53], -v[50:51]
	global_load_dwordx4 v[11:14], v15, s[12:13] offset:1664
	v_add_f64 v[54:55], v[62:63], -v[54:55]
	v_add_f64 v[50:51], v[60:61], -v[50:51]
	v_fma_f64 v[60:61], v[60:61], 2.0, -v[50:51]
	s_waitcnt vmcnt(2)
	v_mul_f64 v[33:34], v[9:10], v[37:38]
	v_fma_f64 v[52:53], v[31:32], v[35:36], v[33:34]
	v_mul_f64 v[31:32], v[31:32], v[37:38]
	v_fma_f64 v[102:103], v[9:10], v[35:36], -v[31:32]
	global_load_dwordx4 v[35:38], v[18:19], off offset:480
	ds_read2_b64 v[31:34], v72 offset0:32 offset1:48
	s_waitcnt vmcnt(2) lgkmcnt(0)
	v_mul_f64 v[9:10], v[31:32], v[29:30]
	v_mul_f64 v[18:19], v[44:45], v[29:30]
	v_fma_f64 v[43:44], v[44:45], v[27:28], v[9:10]
	v_fma_f64 v[18:19], v[31:32], v[27:28], -v[18:19]
	global_load_dwordx4 v[27:30], v15, s[12:13] offset:864
	s_waitcnt vmcnt(2)
	v_mul_f64 v[9:10], v[33:34], v[13:14]
	v_mul_f64 v[13:14], v[46:47], v[13:14]
	v_fma_f64 v[31:32], v[46:47], v[11:12], v[9:10]
	v_fma_f64 v[13:14], v[33:34], v[11:12], -v[13:14]
	global_load_dwordx4 v[9:12], v15, s[12:13] offset:1632
	ds_read_b64 v[33:34], v71
	s_waitcnt vmcnt(2) lgkmcnt(0)
	v_mul_f64 v[45:46], v[33:34], v[37:38]
	v_fma_f64 v[45:46], v[25:26], v[35:36], v[45:46]
	v_mul_f64 v[25:26], v[25:26], v[37:38]
	ds_read_b64 v[37:38], v66
	s_waitcnt lgkmcnt(0)
	v_add_f64 v[98:99], v[37:38], -v[98:99]
	v_add_f64 v[112:113], v[45:46], -v[112:113]
	v_fma_f64 v[25:26], v[33:34], v[35:36], -v[25:26]
	ds_read_b64 v[33:34], v74
	v_fma_f64 v[45:46], v[45:46], 2.0, -v[112:113]
	v_add_f64 v[56:57], v[25:26], -v[56:57]
	v_add_f64 v[45:46], v[6:7], -v[45:46]
	v_fma_f64 v[25:26], v[25:26], 2.0, -v[56:57]
	s_waitcnt vmcnt(1) lgkmcnt(0)
	v_mul_f64 v[35:36], v[33:34], v[29:30]
	v_fma_f64 v[6:7], v[6:7], 2.0, -v[45:46]
	v_fma_f64 v[35:36], v[23:24], v[27:28], v[35:36]
	v_mul_f64 v[23:24], v[23:24], v[29:30]
	v_add_f64 v[29:30], v[16:17], -v[106:107]
	v_add_f64 v[43:44], v[35:36], -v[43:44]
	v_fma_f64 v[23:24], v[33:34], v[27:28], -v[23:24]
	ds_read_b64 v[27:28], v76
	v_fma_f64 v[33:34], v[37:38], 2.0, -v[98:99]
	v_fma_f64 v[37:38], v[62:63], 2.0, -v[54:55]
	v_add_f64 v[50:51], v[29:30], v[50:51]
	v_fma_f64 v[15:16], v[16:17], 2.0, -v[29:30]
	s_waitcnt vmcnt(0) lgkmcnt(0)
	v_mul_f64 v[62:63], v[27:28], v[11:12]
	v_mul_f64 v[11:12], v[21:22], v[11:12]
	v_add_f64 v[17:18], v[23:24], -v[18:19]
	v_fma_f64 v[35:36], v[35:36], 2.0, -v[43:44]
	v_add_f64 v[60:61], v[33:34], -v[60:61]
	v_add_f64 v[54:55], v[98:99], -v[54:55]
	;; [unrolled: 1-line block ×3, first 2 shown]
	v_fma_f64 v[21:22], v[21:22], v[9:10], v[62:63]
	ds_read_b64 v[62:63], v68
	v_fma_f64 v[9:10], v[27:28], v[9:10], -v[11:12]
	ds_read_b64 v[11:12], v73
	ds_read_b64 v[27:28], v70
	;; [unrolled: 1-line block ×3, first 2 shown]
	v_fma_f64 v[116:117], v[33:34], 2.0, -v[60:61]
	v_add_f64 v[33:34], v[4:5], -v[78:79]
	s_waitcnt lgkmcnt(3)
	v_add_f64 v[78:79], v[62:63], -v[100:101]
	v_add_f64 v[100:101], v[104:105], -v[108:109]
	;; [unrolled: 1-line block ×3, first 2 shown]
	s_waitcnt lgkmcnt(1)
	v_add_f64 v[110:111], v[27:28], -v[114:115]
	v_add_f64 v[31:32], v[21:22], -v[31:32]
	;; [unrolled: 1-line block ×3, first 2 shown]
	v_fma_f64 v[23:24], v[23:24], 2.0, -v[17:18]
	v_fma_f64 v[4:5], v[4:5], 2.0, -v[33:34]
	v_fma_f64 v[15:16], v[15:16], 2.0, -v[37:38]
	v_fma_f64 v[104:105], v[104:105], 2.0, -v[100:101]
	v_fma_f64 v[58:59], v[58:59], 2.0, -v[108:109]
	v_fma_f64 v[27:28], v[27:28], 2.0, -v[110:111]
	v_add_f64 v[108:109], v[33:34], v[108:109]
	v_fma_f64 v[21:22], v[21:22], 2.0, -v[31:32]
	v_fma_f64 v[9:10], v[9:10], 2.0, -v[13:14]
	s_waitcnt lgkmcnt(0)
	; wave barrier
	s_waitcnt lgkmcnt(0)
	v_add_f64 v[104:105], v[4:5], -v[104:105]
	v_fma_f64 v[62:63], v[62:63], 2.0, -v[78:79]
	v_add_f64 v[114:115], v[27:28], -v[25:26]
	v_fma_f64 v[25:26], v[29:30], 2.0, -v[50:51]
	v_fma_f64 v[29:30], v[33:34], 2.0, -v[108:109]
	v_add_f64 v[33:34], v[2:3], -v[41:42]
	v_add_f64 v[41:42], v[11:12], -v[48:49]
	;; [unrolled: 1-line block ×4, first 2 shown]
	v_fma_f64 v[4:5], v[4:5], 2.0, -v[104:105]
	v_fma_f64 v[118:119], v[27:28], 2.0, -v[114:115]
	v_add_f64 v[27:28], v[39:40], v[56:57]
	v_add_f64 v[56:57], v[110:111], -v[112:113]
	v_fma_f64 v[2:3], v[2:3], 2.0, -v[33:34]
	v_fma_f64 v[11:12], v[11:12], 2.0, -v[41:42]
	;; [unrolled: 1-line block ×4, first 2 shown]
	v_add_f64 v[17:18], v[33:34], v[17:18]
	ds_write2_b64 v65, v[15:16], v[25:26] offset1:40
	ds_write2_b64 v65, v[37:38], v[50:51] offset0:80 offset1:120
	ds_write2_b64 v68, v[4:5], v[29:30] offset1:40
	ds_write2_b64 v68, v[104:105], v[108:109] offset0:80 offset1:120
	v_fma_f64 v[39:40], v[39:40], 2.0, -v[27:28]
	v_fma_f64 v[106:107], v[110:111], 2.0, -v[56:57]
	v_add_f64 v[35:36], v[2:3], -v[35:36]
	v_add_f64 v[110:111], v[11:12], -v[23:24]
	;; [unrolled: 1-line block ×4, first 2 shown]
	v_add_f64 v[9:10], v[47:48], v[13:14]
	v_mov_b32_e32 v4, 0x500
	v_cndmask_b32_e64 v4, 0, v4, s[0:1]
	v_add_u32_e32 v4, 0, v4
	v_fma_f64 v[2:3], v[2:3], 2.0, -v[35:36]
	v_fma_f64 v[122:123], v[11:12], 2.0, -v[110:111]
	;; [unrolled: 1-line block ×5, first 2 shown]
	v_lshlrev_b32_e32 v5, 3, v8
	v_add3_u32 v49, v4, v5, v77
	ds_write2_b64 v49, v[6:7], v[39:40] offset1:40
	ds_write2_b64 v49, v[45:46], v[27:28] offset0:80 offset1:120
	ds_write2_b64 v65, v[2:3], v[0:1] offset0:168 offset1:184
	;; [unrolled: 1-line block ×3, first 2 shown]
	v_add_u32_e32 v45, 0x400, v65
	v_add_f64 v[120:121], v[52:53], -v[31:32]
	ds_write2_b64 v45, v[35:36], v[21:22] offset0:120 offset1:136
	ds_write2_b64 v72, v[17:18], v[9:10] offset0:32 offset1:48
	s_waitcnt lgkmcnt(0)
	; wave barrier
	s_waitcnt lgkmcnt(0)
	ds_read_b64 v[21:22], v66
	ds_read2_b64 v[0:3], v65 offset0:160 offset1:176
	ds_read_b64 v[23:24], v70
	ds_read2_b64 v[4:7], v65 offset0:192 offset1:208
	ds_read2_b64 v[8:11], v65 offset0:224 offset1:240
	ds_read_b64 v[33:34], v69
	ds_read_b64 v[25:26], v68
	;; [unrolled: 1-line block ×3, first 2 shown]
	ds_read2_b64 v[12:15], v72 offset1:16
	ds_read_b64 v[37:38], v74
	ds_read_b64 v[27:28], v73
	;; [unrolled: 1-line block ×3, first 2 shown]
	ds_read2_b64 v[16:19], v72 offset0:32 offset1:48
	ds_read_b64 v[31:32], v75
	ds_read_b64 v[39:40], v76
	v_add_f64 v[58:59], v[62:63], -v[58:59]
	v_add_f64 v[100:101], v[78:79], -v[100:101]
	;; [unrolled: 1-line block ×3, first 2 shown]
	v_fma_f64 v[98:99], v[98:99], 2.0, -v[54:55]
	v_fma_f64 v[102:103], v[102:103], 2.0, -v[112:113]
	;; [unrolled: 1-line block ×3, first 2 shown]
	s_waitcnt lgkmcnt(0)
	; wave barrier
	s_waitcnt lgkmcnt(0)
	v_fma_f64 v[62:63], v[62:63], 2.0, -v[58:59]
	v_fma_f64 v[78:79], v[78:79], 2.0, -v[100:101]
	;; [unrolled: 1-line block ×3, first 2 shown]
	ds_write2_b64 v65, v[116:117], v[98:99] offset1:40
	ds_write2_b64 v65, v[60:61], v[54:55] offset0:80 offset1:120
	ds_write2_b64 v68, v[62:63], v[78:79] offset1:40
	ds_write2_b64 v68, v[58:59], v[100:101] offset0:80 offset1:120
	;; [unrolled: 2-line block ×3, first 2 shown]
	ds_write2_b64 v65, v[122:123], v[102:103] offset0:168 offset1:184
	ds_write2_b64 v65, v[41:42], v[47:48] offset0:208 offset1:224
	;; [unrolled: 1-line block ×4, first 2 shown]
	s_waitcnt lgkmcnt(0)
	; wave barrier
	s_waitcnt lgkmcnt(0)
	s_and_saveexec_b64 s[0:1], vcc
	s_cbranch_execz .LBB0_15
; %bb.14:
	v_mov_b32_e32 v98, v20
	v_lshlrev_b64 v[41:42], 4, v[97:98]
	v_mov_b32_e32 v98, s13
	v_add_co_u32_e32 v49, vcc, s12, v41
	v_mov_b32_e32 v97, v20
	v_addc_co_u32_e32 v50, vcc, v98, v42, vcc
	v_lshlrev_b64 v[41:42], 4, v[96:97]
	v_mov_b32_e32 v96, v20
	v_add_co_u32_e32 v51, vcc, s12, v41
	v_addc_co_u32_e32 v52, vcc, v98, v42, vcc
	global_load_dwordx4 v[41:44], v[49:50], off offset:2400
	global_load_dwordx4 v[45:48], v[51:52], off offset:2400
	v_lshlrev_b64 v[49:50], 4, v[95:96]
	v_mov_b32_e32 v95, v20
	v_add_co_u32_e32 v49, vcc, s12, v49
	v_addc_co_u32_e32 v50, vcc, v98, v50, vcc
	global_load_dwordx4 v[49:52], v[49:50], off offset:2400
	v_lshlrev_b64 v[53:54], 4, v[94:95]
	v_mov_b32_e32 v94, v20
	v_add_co_u32_e32 v53, vcc, s12, v53
	v_addc_co_u32_e32 v54, vcc, v98, v54, vcc
	;; [unrolled: 5-line block ×5, first 2 shown]
	global_load_dwordx4 v[77:80], v[77:78], off offset:2400
	v_lshlrev_b64 v[89:90], 4, v[89:90]
	v_mov_b32_e32 v88, v20
	v_lshlrev_b64 v[91:92], 4, v[87:88]
	v_add_co_u32_e32 v87, vcc, s12, v89
	v_addc_co_u32_e32 v88, vcc, v98, v90, vcc
	global_load_dwordx4 v[87:90], v[87:88], off offset:2400
	v_mov_b32_e32 v82, v20
	v_lshlrev_b64 v[95:96], 4, v[81:82]
	v_add_co_u32_e32 v91, vcc, s12, v91
	v_addc_co_u32_e32 v92, vcc, v98, v92, vcc
	v_add_co_u32_e32 v95, vcc, s12, v95
	v_addc_co_u32_e32 v96, vcc, v98, v96, vcc
	global_load_dwordx4 v[91:94], v[91:92], off offset:2400
	v_mul_lo_u32 v82, s3, v85
	global_load_dwordx4 v[95:98], v[95:96], off offset:2400
	v_mul_lo_u32 v125, s2, v86
	v_mad_u64_u32 v[111:112], s[0:1], s2, v85, 0
	ds_read2_b64 v[99:102], v72 offset0:32 offset1:48
	ds_read2_b64 v[103:106], v72 offset1:16
	ds_read2_b64 v[107:110], v65 offset0:224 offset1:240
	ds_read_b64 v[85:86], v76
	ds_read_b64 v[75:76], v75
	;; [unrolled: 1-line block ×6, first 2 shown]
	s_mov_b32 s0, 0xcccccccd
	s_movk_i32 s1, 0xa0
	v_add3_u32 v112, v112, v125, v82
	s_waitcnt vmcnt(9)
	v_mul_f64 v[72:73], v[18:19], v[43:44]
	s_waitcnt lgkmcnt(8)
	v_mul_f64 v[43:44], v[101:102], v[43:44]
	s_waitcnt vmcnt(8)
	v_mul_f64 v[117:118], v[16:17], v[47:48]
	v_mul_f64 v[47:48], v[99:100], v[47:48]
	s_waitcnt vmcnt(7)
	v_mul_f64 v[119:120], v[14:15], v[51:52]
	s_waitcnt lgkmcnt(7)
	v_mul_f64 v[51:52], v[105:106], v[51:52]
	v_fma_f64 v[70:71], v[41:42], v[101:102], -v[72:73]
	v_fma_f64 v[18:19], v[18:19], v[41:42], v[43:44]
	v_fma_f64 v[41:42], v[99:100], v[45:46], -v[117:118]
	v_fma_f64 v[45:46], v[16:17], v[45:46], v[47:48]
	s_waitcnt vmcnt(6)
	v_mul_f64 v[99:100], v[12:13], v[55:56]
	v_fma_f64 v[47:48], v[105:106], v[49:50], -v[119:120]
	v_fma_f64 v[49:50], v[14:15], v[49:50], v[51:52]
	s_waitcnt lgkmcnt(5)
	v_add_f64 v[16:17], v[85:86], -v[70:71]
	v_add_f64 v[14:15], v[39:40], -v[18:19]
	s_waitcnt lgkmcnt(3)
	v_add_f64 v[43:44], v[113:114], -v[41:42]
	v_add_f64 v[41:42], v[37:38], -v[45:46]
	v_mul_f64 v[18:19], v[103:104], v[55:56]
	s_waitcnt vmcnt(5)
	v_mul_f64 v[55:56], v[10:11], v[59:60]
	v_mul_f64 v[59:60], v[109:110], v[59:60]
	v_add_f64 v[45:46], v[35:36], -v[49:50]
	v_fma_f64 v[51:52], v[85:86], 2.0, -v[16:17]
	ds_read_b64 v[85:86], v69
	ds_read_b64 v[101:102], v68
	;; [unrolled: 1-line block ×3, first 2 shown]
	s_waitcnt lgkmcnt(4)
	v_add_f64 v[47:48], v[121:122], -v[47:48]
	v_fma_f64 v[18:19], v[12:13], v[53:54], v[18:19]
	v_fma_f64 v[55:56], v[109:110], v[57:58], -v[55:56]
	v_fma_f64 v[49:50], v[39:40], 2.0, -v[14:15]
	v_fma_f64 v[70:71], v[35:36], 2.0, -v[45:46]
	v_fma_f64 v[35:36], v[103:104], v[53:54], -v[99:100]
	s_waitcnt vmcnt(4)
	v_mul_f64 v[53:54], v[8:9], v[63:64]
	v_fma_f64 v[99:100], v[10:11], v[57:58], v[59:60]
	v_mul_f64 v[57:58], v[107:108], v[63:64]
	v_add_f64 v[10:11], v[33:34], -v[18:19]
	s_waitcnt lgkmcnt(0)
	v_add_f64 v[55:56], v[67:68], -v[55:56]
	ds_read_b64 v[18:19], v66
	v_fma_f64 v[72:73], v[121:122], 2.0, -v[47:48]
	v_add_f64 v[12:13], v[85:86], -v[35:36]
	v_fma_f64 v[63:64], v[107:108], v[61:62], -v[53:54]
	v_add_f64 v[53:54], v[29:30], -v[99:100]
	v_fma_f64 v[8:9], v[8:9], v[61:62], v[57:58]
	ds_read2_b64 v[57:60], v65 offset0:192 offset1:208
	v_fma_f64 v[68:69], v[67:68], 2.0, -v[55:56]
	v_fma_f64 v[33:34], v[33:34], 2.0, -v[10:11]
	;; [unrolled: 1-line block ×4, first 2 shown]
	v_add_f64 v[63:64], v[75:76], -v[63:64]
	s_waitcnt vmcnt(3)
	v_mul_f64 v[85:86], v[6:7], v[79:80]
	s_waitcnt lgkmcnt(0)
	v_mul_f64 v[79:80], v[59:60], v[79:80]
	v_add_f64 v[61:62], v[31:32], -v[8:9]
	v_fma_f64 v[66:67], v[29:30], 2.0, -v[53:54]
	s_waitcnt vmcnt(2)
	v_mul_f64 v[29:30], v[4:5], v[89:90]
	s_waitcnt vmcnt(0)
	v_mul_f64 v[99:100], v[0:1], v[97:98]
	v_fma_f64 v[37:38], v[37:38], 2.0, -v[41:42]
	v_fma_f64 v[8:9], v[75:76], 2.0, -v[63:64]
	v_fma_f64 v[59:60], v[59:60], v[77:78], -v[85:86]
	v_fma_f64 v[78:79], v[6:7], v[77:78], v[79:80]
	ds_read2_b64 v[74:77], v65 offset0:160 offset1:176
	v_mul_f64 v[85:86], v[57:58], v[89:90]
	v_mul_f64 v[89:90], v[2:3], v[93:94]
	v_fma_f64 v[57:58], v[57:58], v[87:88], -v[29:30]
	v_mul_hi_u32 v65, v81, s0
	s_waitcnt lgkmcnt(0)
	v_mul_f64 v[93:94], v[76:77], v[93:94]
	v_fma_f64 v[6:7], v[31:32], 2.0, -v[61:62]
	v_add_f64 v[29:30], v[27:28], -v[78:79]
	v_mul_f64 v[78:79], v[74:75], v[97:98]
	v_fma_f64 v[85:86], v[4:5], v[87:88], v[85:86]
	v_fma_f64 v[76:77], v[76:77], v[91:92], -v[89:90]
	v_add_f64 v[4:5], v[123:124], -v[57:58]
	v_add_f64 v[31:32], v[115:116], -v[59:60]
	v_fma_f64 v[89:90], v[2:3], v[91:92], v[93:94]
	v_fma_f64 v[91:92], v[74:75], v[95:96], -v[99:100]
	v_fma_f64 v[57:58], v[27:28], 2.0, -v[29:30]
	v_fma_f64 v[0:1], v[0:1], v[95:96], v[78:79]
	v_add_f64 v[2:3], v[23:24], -v[85:86]
	v_add_u32_e32 v78, 16, v81
	v_mul_hi_u32 v79, v78, s0
	v_add_f64 v[76:77], v[101:102], -v[76:77]
	v_add_f64 v[74:75], v[25:26], -v[89:90]
	;; [unrolled: 1-line block ×3, first 2 shown]
	v_fma_f64 v[87:88], v[123:124], 2.0, -v[4:5]
	v_add_f64 v[89:90], v[21:22], -v[0:1]
	v_lshrrev_b32_e32 v0, 7, v65
	v_mul_lo_u32 v0, v0, s1
	v_fma_f64 v[85:86], v[23:24], 2.0, -v[2:3]
	v_fma_f64 v[27:28], v[101:102], 2.0, -v[76:77]
	;; [unrolled: 1-line block ×4, first 2 shown]
	v_sub_u32_e32 v18, v81, v0
	v_lshlrev_b64 v[0:1], 4, v[111:112]
	v_mov_b32_e32 v19, s11
	v_add_co_u32_e32 v65, vcc, s10, v0
	v_addc_co_u32_e32 v19, vcc, v19, v1, vcc
	v_lshlrev_b64 v[0:1], 4, v[83:84]
	v_fma_f64 v[21:22], v[21:22], 2.0, -v[89:90]
	v_add_co_u32_e32 v65, vcc, v65, v0
	v_addc_co_u32_e32 v80, vcc, v19, v1, vcc
	v_lshrrev_b32_e32 v19, 7, v79
	v_lshlrev_b32_e32 v0, 4, v18
	v_mul_lo_u32 v18, v19, s1
	v_add_co_u32_e32 v0, vcc, v65, v0
	v_addc_co_u32_e32 v1, vcc, 0, v80, vcc
	v_sub_u32_e32 v18, v78, v18
	v_mad_u64_u32 v[18:19], s[2:3], v19, s4, v[18:19]
	global_store_dwordx4 v[0:1], v[21:24], off
	global_store_dwordx4 v[0:1], v[89:92], off offset:2560
	v_mov_b32_e32 v19, v20
	v_add_u32_e32 v21, 32, v81
	v_lshlrev_b64 v[0:1], 4, v[18:19]
	v_mul_hi_u32 v19, v21, s0
	v_add_co_u32_e32 v0, vcc, v65, v0
	v_addc_co_u32_e32 v1, vcc, v80, v1, vcc
	v_lshrrev_b32_e32 v22, 7, v19
	v_mul_lo_u32 v23, v22, s1
	v_add_u32_e32 v19, 0xa0, v18
	global_store_dwordx4 v[0:1], v[25:28], off
	v_lshlrev_b64 v[0:1], 4, v[19:20]
	v_sub_u32_e32 v18, v21, v23
	v_mad_u64_u32 v[18:19], s[2:3], v22, s4, v[18:19]
	v_add_co_u32_e32 v0, vcc, v65, v0
	v_addc_co_u32_e32 v1, vcc, v80, v1, vcc
	v_mov_b32_e32 v19, v20
	v_add_u32_e32 v21, 48, v81
	global_store_dwordx4 v[0:1], v[74:77], off
	v_lshlrev_b64 v[0:1], 4, v[18:19]
	v_mul_hi_u32 v19, v21, s0
	v_add_co_u32_e32 v0, vcc, v65, v0
	v_addc_co_u32_e32 v1, vcc, v80, v1, vcc
	v_lshrrev_b32_e32 v22, 7, v19
	v_add_u32_e32 v19, 0xa0, v18
	global_store_dwordx4 v[0:1], v[85:88], off
	v_lshlrev_b64 v[0:1], 4, v[19:20]
	v_mul_lo_u32 v23, v22, s1
	v_add_co_u32_e32 v0, vcc, v65, v0
	v_addc_co_u32_e32 v1, vcc, v80, v1, vcc
	global_store_dwordx4 v[0:1], v[2:5], off
	v_sub_u32_e32 v18, v21, v23
	v_add_u32_e32 v2, 64, v81
	v_mul_hi_u32 v3, v2, s0
	v_fma_f64 v[59:60], v[115:116], 2.0, -v[31:32]
	v_mad_u64_u32 v[18:19], s[2:3], v22, s4, v[18:19]
	v_lshrrev_b32_e32 v3, 7, v3
	v_mov_b32_e32 v19, v20
	v_mul_lo_u32 v4, v3, s1
	v_lshlrev_b64 v[0:1], 4, v[18:19]
	v_add_u32_e32 v19, 0xa0, v18
	v_add_co_u32_e32 v0, vcc, v65, v0
	v_addc_co_u32_e32 v1, vcc, v80, v1, vcc
	v_sub_u32_e32 v2, v2, v4
	global_store_dwordx4 v[0:1], v[57:60], off
	v_lshlrev_b64 v[0:1], 4, v[19:20]
	v_mad_u64_u32 v[2:3], s[2:3], v3, s4, v[2:3]
	v_add_co_u32_e32 v0, vcc, v65, v0
	v_addc_co_u32_e32 v1, vcc, v80, v1, vcc
	v_mov_b32_e32 v3, v20
	global_store_dwordx4 v[0:1], v[29:32], off
	v_lshlrev_b64 v[0:1], 4, v[2:3]
	v_add_u32_e32 v3, 0x50, v81
	v_mul_hi_u32 v4, v3, s0
	v_add_co_u32_e32 v0, vcc, v65, v0
	v_addc_co_u32_e32 v1, vcc, v80, v1, vcc
	v_lshrrev_b32_e32 v4, 7, v4
	v_mul_lo_u32 v5, v4, s1
	v_add_u32_e32 v19, 0xa0, v2
	global_store_dwordx4 v[0:1], v[6:9], off
	v_lshlrev_b64 v[0:1], 4, v[19:20]
	v_sub_u32_e32 v2, v3, v5
	v_mad_u64_u32 v[2:3], s[2:3], v4, s4, v[2:3]
	v_add_co_u32_e32 v0, vcc, v65, v0
	v_addc_co_u32_e32 v1, vcc, v80, v1, vcc
	v_mov_b32_e32 v3, v20
	global_store_dwordx4 v[0:1], v[61:64], off
	v_lshlrev_b64 v[0:1], 4, v[2:3]
	v_add_u32_e32 v3, 0x60, v81
	v_mul_hi_u32 v4, v3, s0
	v_add_co_u32_e32 v0, vcc, v65, v0
	v_addc_co_u32_e32 v1, vcc, v80, v1, vcc
	v_lshrrev_b32_e32 v4, 7, v4
	v_mul_lo_u32 v5, v4, s1
	v_add_u32_e32 v19, 0xa0, v2
	global_store_dwordx4 v[0:1], v[66:69], off
	v_lshlrev_b64 v[0:1], 4, v[19:20]
	v_sub_u32_e32 v2, v3, v5
	;; [unrolled: 16-line block ×5, first 2 shown]
	v_mad_u64_u32 v[2:3], s[0:1], v4, s4, v[2:3]
	v_add_co_u32_e32 v0, vcc, v65, v0
	v_addc_co_u32_e32 v1, vcc, v80, v1, vcc
	v_mov_b32_e32 v3, v20
	global_store_dwordx4 v[0:1], v[41:44], off
	v_lshlrev_b64 v[0:1], 4, v[2:3]
	v_add_u32_e32 v19, 0xa0, v2
	v_add_co_u32_e32 v0, vcc, v65, v0
	v_addc_co_u32_e32 v1, vcc, v80, v1, vcc
	global_store_dwordx4 v[0:1], v[49:52], off
	v_lshlrev_b64 v[0:1], 4, v[19:20]
	v_add_co_u32_e32 v0, vcc, v65, v0
	v_addc_co_u32_e32 v1, vcc, v80, v1, vcc
	global_store_dwordx4 v[0:1], v[14:17], off
.LBB0_15:
	s_endpgm
	.section	.rodata,"a",@progbits
	.p2align	6, 0x0
	.amdhsa_kernel fft_rtc_back_len320_factors_10_4_4_2_wgs_64_tpt_16_halfLds_dp_op_CI_CI_unitstride_sbrr_dirReg
		.amdhsa_group_segment_fixed_size 0
		.amdhsa_private_segment_fixed_size 0
		.amdhsa_kernarg_size 104
		.amdhsa_user_sgpr_count 6
		.amdhsa_user_sgpr_private_segment_buffer 1
		.amdhsa_user_sgpr_dispatch_ptr 0
		.amdhsa_user_sgpr_queue_ptr 0
		.amdhsa_user_sgpr_kernarg_segment_ptr 1
		.amdhsa_user_sgpr_dispatch_id 0
		.amdhsa_user_sgpr_flat_scratch_init 0
		.amdhsa_user_sgpr_private_segment_size 0
		.amdhsa_uses_dynamic_stack 0
		.amdhsa_system_sgpr_private_segment_wavefront_offset 0
		.amdhsa_system_sgpr_workgroup_id_x 1
		.amdhsa_system_sgpr_workgroup_id_y 0
		.amdhsa_system_sgpr_workgroup_id_z 0
		.amdhsa_system_sgpr_workgroup_info 0
		.amdhsa_system_vgpr_workitem_id 0
		.amdhsa_next_free_vgpr 126
		.amdhsa_next_free_sgpr 28
		.amdhsa_reserve_vcc 1
		.amdhsa_reserve_flat_scratch 0
		.amdhsa_float_round_mode_32 0
		.amdhsa_float_round_mode_16_64 0
		.amdhsa_float_denorm_mode_32 3
		.amdhsa_float_denorm_mode_16_64 3
		.amdhsa_dx10_clamp 1
		.amdhsa_ieee_mode 1
		.amdhsa_fp16_overflow 0
		.amdhsa_exception_fp_ieee_invalid_op 0
		.amdhsa_exception_fp_denorm_src 0
		.amdhsa_exception_fp_ieee_div_zero 0
		.amdhsa_exception_fp_ieee_overflow 0
		.amdhsa_exception_fp_ieee_underflow 0
		.amdhsa_exception_fp_ieee_inexact 0
		.amdhsa_exception_int_div_zero 0
	.end_amdhsa_kernel
	.text
.Lfunc_end0:
	.size	fft_rtc_back_len320_factors_10_4_4_2_wgs_64_tpt_16_halfLds_dp_op_CI_CI_unitstride_sbrr_dirReg, .Lfunc_end0-fft_rtc_back_len320_factors_10_4_4_2_wgs_64_tpt_16_halfLds_dp_op_CI_CI_unitstride_sbrr_dirReg
                                        ; -- End function
	.section	.AMDGPU.csdata,"",@progbits
; Kernel info:
; codeLenInByte = 10676
; NumSgprs: 32
; NumVgprs: 126
; ScratchSize: 0
; MemoryBound: 1
; FloatMode: 240
; IeeeMode: 1
; LDSByteSize: 0 bytes/workgroup (compile time only)
; SGPRBlocks: 3
; VGPRBlocks: 31
; NumSGPRsForWavesPerEU: 32
; NumVGPRsForWavesPerEU: 126
; Occupancy: 2
; WaveLimiterHint : 1
; COMPUTE_PGM_RSRC2:SCRATCH_EN: 0
; COMPUTE_PGM_RSRC2:USER_SGPR: 6
; COMPUTE_PGM_RSRC2:TRAP_HANDLER: 0
; COMPUTE_PGM_RSRC2:TGID_X_EN: 1
; COMPUTE_PGM_RSRC2:TGID_Y_EN: 0
; COMPUTE_PGM_RSRC2:TGID_Z_EN: 0
; COMPUTE_PGM_RSRC2:TIDIG_COMP_CNT: 0
	.type	__hip_cuid_3658349cd3030ced,@object ; @__hip_cuid_3658349cd3030ced
	.section	.bss,"aw",@nobits
	.globl	__hip_cuid_3658349cd3030ced
__hip_cuid_3658349cd3030ced:
	.byte	0                               ; 0x0
	.size	__hip_cuid_3658349cd3030ced, 1

	.ident	"AMD clang version 19.0.0git (https://github.com/RadeonOpenCompute/llvm-project roc-6.4.0 25133 c7fe45cf4b819c5991fe208aaa96edf142730f1d)"
	.section	".note.GNU-stack","",@progbits
	.addrsig
	.addrsig_sym __hip_cuid_3658349cd3030ced
	.amdgpu_metadata
---
amdhsa.kernels:
  - .args:
      - .actual_access:  read_only
        .address_space:  global
        .offset:         0
        .size:           8
        .value_kind:     global_buffer
      - .offset:         8
        .size:           8
        .value_kind:     by_value
      - .actual_access:  read_only
        .address_space:  global
        .offset:         16
        .size:           8
        .value_kind:     global_buffer
      - .actual_access:  read_only
        .address_space:  global
        .offset:         24
        .size:           8
        .value_kind:     global_buffer
      - .actual_access:  read_only
        .address_space:  global
        .offset:         32
        .size:           8
        .value_kind:     global_buffer
      - .offset:         40
        .size:           8
        .value_kind:     by_value
      - .actual_access:  read_only
        .address_space:  global
        .offset:         48
        .size:           8
        .value_kind:     global_buffer
      - .actual_access:  read_only
        .address_space:  global
        .offset:         56
        .size:           8
        .value_kind:     global_buffer
      - .offset:         64
        .size:           4
        .value_kind:     by_value
      - .actual_access:  read_only
        .address_space:  global
        .offset:         72
        .size:           8
        .value_kind:     global_buffer
      - .actual_access:  read_only
        .address_space:  global
        .offset:         80
        .size:           8
        .value_kind:     global_buffer
      - .actual_access:  read_only
        .address_space:  global
        .offset:         88
        .size:           8
        .value_kind:     global_buffer
      - .actual_access:  write_only
        .address_space:  global
        .offset:         96
        .size:           8
        .value_kind:     global_buffer
    .group_segment_fixed_size: 0
    .kernarg_segment_align: 8
    .kernarg_segment_size: 104
    .language:       OpenCL C
    .language_version:
      - 2
      - 0
    .max_flat_workgroup_size: 64
    .name:           fft_rtc_back_len320_factors_10_4_4_2_wgs_64_tpt_16_halfLds_dp_op_CI_CI_unitstride_sbrr_dirReg
    .private_segment_fixed_size: 0
    .sgpr_count:     32
    .sgpr_spill_count: 0
    .symbol:         fft_rtc_back_len320_factors_10_4_4_2_wgs_64_tpt_16_halfLds_dp_op_CI_CI_unitstride_sbrr_dirReg.kd
    .uniform_work_group_size: 1
    .uses_dynamic_stack: false
    .vgpr_count:     126
    .vgpr_spill_count: 0
    .wavefront_size: 64
amdhsa.target:   amdgcn-amd-amdhsa--gfx906
amdhsa.version:
  - 1
  - 2
...

	.end_amdgpu_metadata
